;; amdgpu-corpus repo=ROCm/rocFFT kind=compiled arch=gfx1030 opt=O3
	.text
	.amdgcn_target "amdgcn-amd-amdhsa--gfx1030"
	.amdhsa_code_object_version 6
	.protected	fft_rtc_fwd_len2700_factors_3_10_10_3_3_wgs_90_tpt_90_halfLds_dp_op_CI_CI_unitstride_sbrr_R2C_dirReg ; -- Begin function fft_rtc_fwd_len2700_factors_3_10_10_3_3_wgs_90_tpt_90_halfLds_dp_op_CI_CI_unitstride_sbrr_R2C_dirReg
	.globl	fft_rtc_fwd_len2700_factors_3_10_10_3_3_wgs_90_tpt_90_halfLds_dp_op_CI_CI_unitstride_sbrr_R2C_dirReg
	.p2align	8
	.type	fft_rtc_fwd_len2700_factors_3_10_10_3_3_wgs_90_tpt_90_halfLds_dp_op_CI_CI_unitstride_sbrr_R2C_dirReg,@function
fft_rtc_fwd_len2700_factors_3_10_10_3_3_wgs_90_tpt_90_halfLds_dp_op_CI_CI_unitstride_sbrr_R2C_dirReg: ; @fft_rtc_fwd_len2700_factors_3_10_10_3_3_wgs_90_tpt_90_halfLds_dp_op_CI_CI_unitstride_sbrr_R2C_dirReg
; %bb.0:
	s_clause 0x2
	s_load_dwordx4 s[12:15], s[4:5], 0x0
	s_load_dwordx4 s[8:11], s[4:5], 0x58
	;; [unrolled: 1-line block ×3, first 2 shown]
	v_mul_u32_u24_e32 v1, 0x2d9, v0
	v_mov_b32_e32 v3, 0
	v_add_nc_u32_sdwa v5, s6, v1 dst_sel:DWORD dst_unused:UNUSED_PAD src0_sel:DWORD src1_sel:WORD_1
	v_mov_b32_e32 v1, 0
	v_mov_b32_e32 v6, v3
	v_mov_b32_e32 v2, 0
	s_waitcnt lgkmcnt(0)
	v_cmp_lt_u64_e64 s0, s[14:15], 2
	s_and_b32 vcc_lo, exec_lo, s0
	s_cbranch_vccnz .LBB0_8
; %bb.1:
	s_load_dwordx2 s[0:1], s[4:5], 0x10
	v_mov_b32_e32 v1, 0
	v_mov_b32_e32 v2, 0
	s_add_u32 s2, s18, 8
	s_addc_u32 s3, s19, 0
	s_add_u32 s6, s16, 8
	s_addc_u32 s7, s17, 0
	v_mov_b32_e32 v27, v2
	v_mov_b32_e32 v26, v1
	s_mov_b64 s[22:23], 1
	s_waitcnt lgkmcnt(0)
	s_add_u32 s20, s0, 8
	s_addc_u32 s21, s1, 0
.LBB0_2:                                ; =>This Inner Loop Header: Depth=1
	s_load_dwordx2 s[24:25], s[20:21], 0x0
                                        ; implicit-def: $vgpr30_vgpr31
	s_mov_b32 s0, exec_lo
	s_waitcnt lgkmcnt(0)
	v_or_b32_e32 v4, s25, v6
	v_cmpx_ne_u64_e32 0, v[3:4]
	s_xor_b32 s1, exec_lo, s0
	s_cbranch_execz .LBB0_4
; %bb.3:                                ;   in Loop: Header=BB0_2 Depth=1
	v_cvt_f32_u32_e32 v4, s24
	v_cvt_f32_u32_e32 v7, s25
	s_sub_u32 s0, 0, s24
	s_subb_u32 s26, 0, s25
	v_fmac_f32_e32 v4, 0x4f800000, v7
	v_rcp_f32_e32 v4, v4
	v_mul_f32_e32 v4, 0x5f7ffffc, v4
	v_mul_f32_e32 v7, 0x2f800000, v4
	v_trunc_f32_e32 v7, v7
	v_fmac_f32_e32 v4, 0xcf800000, v7
	v_cvt_u32_f32_e32 v7, v7
	v_cvt_u32_f32_e32 v4, v4
	v_mul_lo_u32 v8, s0, v7
	v_mul_hi_u32 v9, s0, v4
	v_mul_lo_u32 v10, s26, v4
	v_add_nc_u32_e32 v8, v9, v8
	v_mul_lo_u32 v9, s0, v4
	v_add_nc_u32_e32 v8, v8, v10
	v_mul_hi_u32 v10, v4, v9
	v_mul_lo_u32 v11, v4, v8
	v_mul_hi_u32 v12, v4, v8
	v_mul_hi_u32 v13, v7, v9
	v_mul_lo_u32 v9, v7, v9
	v_mul_hi_u32 v14, v7, v8
	v_mul_lo_u32 v8, v7, v8
	v_add_co_u32 v10, vcc_lo, v10, v11
	v_add_co_ci_u32_e32 v11, vcc_lo, 0, v12, vcc_lo
	v_add_co_u32 v9, vcc_lo, v10, v9
	v_add_co_ci_u32_e32 v9, vcc_lo, v11, v13, vcc_lo
	v_add_co_ci_u32_e32 v10, vcc_lo, 0, v14, vcc_lo
	v_add_co_u32 v8, vcc_lo, v9, v8
	v_add_co_ci_u32_e32 v9, vcc_lo, 0, v10, vcc_lo
	v_add_co_u32 v4, vcc_lo, v4, v8
	v_add_co_ci_u32_e32 v7, vcc_lo, v7, v9, vcc_lo
	v_mul_hi_u32 v8, s0, v4
	v_mul_lo_u32 v10, s26, v4
	v_mul_lo_u32 v9, s0, v7
	v_add_nc_u32_e32 v8, v8, v9
	v_mul_lo_u32 v9, s0, v4
	v_add_nc_u32_e32 v8, v8, v10
	v_mul_hi_u32 v10, v4, v9
	v_mul_lo_u32 v11, v4, v8
	v_mul_hi_u32 v12, v4, v8
	v_mul_hi_u32 v13, v7, v9
	v_mul_lo_u32 v9, v7, v9
	v_mul_hi_u32 v14, v7, v8
	v_mul_lo_u32 v8, v7, v8
	v_add_co_u32 v10, vcc_lo, v10, v11
	v_add_co_ci_u32_e32 v11, vcc_lo, 0, v12, vcc_lo
	v_add_co_u32 v9, vcc_lo, v10, v9
	v_add_co_ci_u32_e32 v9, vcc_lo, v11, v13, vcc_lo
	v_add_co_ci_u32_e32 v10, vcc_lo, 0, v14, vcc_lo
	v_add_co_u32 v8, vcc_lo, v9, v8
	v_add_co_ci_u32_e32 v9, vcc_lo, 0, v10, vcc_lo
	v_add_co_u32 v4, vcc_lo, v4, v8
	v_add_co_ci_u32_e32 v11, vcc_lo, v7, v9, vcc_lo
	v_mul_hi_u32 v13, v5, v4
	v_mad_u64_u32 v[9:10], null, v6, v4, 0
	v_mad_u64_u32 v[7:8], null, v5, v11, 0
	;; [unrolled: 1-line block ×3, first 2 shown]
	v_add_co_u32 v4, vcc_lo, v13, v7
	v_add_co_ci_u32_e32 v7, vcc_lo, 0, v8, vcc_lo
	v_add_co_u32 v4, vcc_lo, v4, v9
	v_add_co_ci_u32_e32 v4, vcc_lo, v7, v10, vcc_lo
	v_add_co_ci_u32_e32 v7, vcc_lo, 0, v12, vcc_lo
	v_add_co_u32 v4, vcc_lo, v4, v11
	v_add_co_ci_u32_e32 v9, vcc_lo, 0, v7, vcc_lo
	v_mul_lo_u32 v10, s25, v4
	v_mad_u64_u32 v[7:8], null, s24, v4, 0
	v_mul_lo_u32 v11, s24, v9
	v_sub_co_u32 v7, vcc_lo, v5, v7
	v_add3_u32 v8, v8, v11, v10
	v_sub_nc_u32_e32 v10, v6, v8
	v_subrev_co_ci_u32_e64 v10, s0, s25, v10, vcc_lo
	v_add_co_u32 v11, s0, v4, 2
	v_add_co_ci_u32_e64 v12, s0, 0, v9, s0
	v_sub_co_u32 v13, s0, v7, s24
	v_sub_co_ci_u32_e32 v8, vcc_lo, v6, v8, vcc_lo
	v_subrev_co_ci_u32_e64 v10, s0, 0, v10, s0
	v_cmp_le_u32_e32 vcc_lo, s24, v13
	v_cmp_eq_u32_e64 s0, s25, v8
	v_cndmask_b32_e64 v13, 0, -1, vcc_lo
	v_cmp_le_u32_e32 vcc_lo, s25, v10
	v_cndmask_b32_e64 v14, 0, -1, vcc_lo
	v_cmp_le_u32_e32 vcc_lo, s24, v7
	;; [unrolled: 2-line block ×3, first 2 shown]
	v_cndmask_b32_e64 v15, 0, -1, vcc_lo
	v_cmp_eq_u32_e32 vcc_lo, s25, v10
	v_cndmask_b32_e64 v7, v15, v7, s0
	v_cndmask_b32_e32 v10, v14, v13, vcc_lo
	v_add_co_u32 v13, vcc_lo, v4, 1
	v_add_co_ci_u32_e32 v14, vcc_lo, 0, v9, vcc_lo
	v_cmp_ne_u32_e32 vcc_lo, 0, v10
	v_cndmask_b32_e32 v8, v14, v12, vcc_lo
	v_cndmask_b32_e32 v10, v13, v11, vcc_lo
	v_cmp_ne_u32_e32 vcc_lo, 0, v7
	v_cndmask_b32_e32 v31, v9, v8, vcc_lo
	v_cndmask_b32_e32 v30, v4, v10, vcc_lo
.LBB0_4:                                ;   in Loop: Header=BB0_2 Depth=1
	s_andn2_saveexec_b32 s0, s1
	s_cbranch_execz .LBB0_6
; %bb.5:                                ;   in Loop: Header=BB0_2 Depth=1
	v_cvt_f32_u32_e32 v4, s24
	s_sub_i32 s1, 0, s24
	v_mov_b32_e32 v31, v3
	v_rcp_iflag_f32_e32 v4, v4
	v_mul_f32_e32 v4, 0x4f7ffffe, v4
	v_cvt_u32_f32_e32 v4, v4
	v_mul_lo_u32 v7, s1, v4
	v_mul_hi_u32 v7, v4, v7
	v_add_nc_u32_e32 v4, v4, v7
	v_mul_hi_u32 v4, v5, v4
	v_mul_lo_u32 v7, v4, s24
	v_add_nc_u32_e32 v8, 1, v4
	v_sub_nc_u32_e32 v7, v5, v7
	v_subrev_nc_u32_e32 v9, s24, v7
	v_cmp_le_u32_e32 vcc_lo, s24, v7
	v_cndmask_b32_e32 v7, v7, v9, vcc_lo
	v_cndmask_b32_e32 v4, v4, v8, vcc_lo
	v_cmp_le_u32_e32 vcc_lo, s24, v7
	v_add_nc_u32_e32 v8, 1, v4
	v_cndmask_b32_e32 v30, v4, v8, vcc_lo
.LBB0_6:                                ;   in Loop: Header=BB0_2 Depth=1
	s_or_b32 exec_lo, exec_lo, s0
	v_mul_lo_u32 v4, v31, s24
	v_mul_lo_u32 v9, v30, s25
	s_load_dwordx2 s[0:1], s[6:7], 0x0
	v_mad_u64_u32 v[7:8], null, v30, s24, 0
	s_load_dwordx2 s[24:25], s[2:3], 0x0
	s_add_u32 s22, s22, 1
	s_addc_u32 s23, s23, 0
	s_add_u32 s2, s2, 8
	s_addc_u32 s3, s3, 0
	s_add_u32 s6, s6, 8
	v_add3_u32 v4, v8, v9, v4
	v_sub_co_u32 v5, vcc_lo, v5, v7
	s_addc_u32 s7, s7, 0
	s_add_u32 s20, s20, 8
	v_sub_co_ci_u32_e32 v4, vcc_lo, v6, v4, vcc_lo
	s_addc_u32 s21, s21, 0
	s_waitcnt lgkmcnt(0)
	v_mul_lo_u32 v6, s0, v4
	v_mul_lo_u32 v7, s1, v5
	v_mad_u64_u32 v[1:2], null, s0, v5, v[1:2]
	v_mul_lo_u32 v4, s24, v4
	v_mul_lo_u32 v8, s25, v5
	v_mad_u64_u32 v[26:27], null, s24, v5, v[26:27]
	v_cmp_ge_u64_e64 s0, s[22:23], s[14:15]
	v_add3_u32 v2, v7, v2, v6
	v_add3_u32 v27, v8, v27, v4
	s_and_b32 vcc_lo, exec_lo, s0
	s_cbranch_vccnz .LBB0_9
; %bb.7:                                ;   in Loop: Header=BB0_2 Depth=1
	v_mov_b32_e32 v5, v30
	v_mov_b32_e32 v6, v31
	s_branch .LBB0_2
.LBB0_8:
	v_mov_b32_e32 v27, v2
	v_mov_b32_e32 v31, v6
	;; [unrolled: 1-line block ×4, first 2 shown]
.LBB0_9:
	s_load_dwordx2 s[0:1], s[4:5], 0x28
	v_mul_hi_u32 v3, 0x2d82d83, v0
	s_lshl_b64 s[4:5], s[14:15], 3
                                        ; implicit-def: $vgpr24
                                        ; implicit-def: $vgpr28
                                        ; implicit-def: $vgpr39
                                        ; implicit-def: $vgpr38
                                        ; implicit-def: $vgpr37
                                        ; implicit-def: $vgpr36
                                        ; implicit-def: $vgpr35
                                        ; implicit-def: $vgpr34
                                        ; implicit-def: $vgpr33
                                        ; implicit-def: $vgpr32
	s_add_u32 s2, s18, s4
	s_addc_u32 s3, s19, s5
	s_waitcnt lgkmcnt(0)
	v_cmp_gt_u64_e32 vcc_lo, s[0:1], v[30:31]
	v_cmp_le_u64_e64 s0, s[0:1], v[30:31]
	s_and_saveexec_b32 s1, s0
	s_xor_b32 s0, exec_lo, s1
; %bb.10:
	v_mul_u32_u24_e32 v1, 0x5a, v3
                                        ; implicit-def: $vgpr3
	v_sub_nc_u32_e32 v24, v0, v1
                                        ; implicit-def: $vgpr0
                                        ; implicit-def: $vgpr1_vgpr2
	v_add_nc_u32_e32 v28, 0x5a, v24
	v_add_nc_u32_e32 v39, 0xb4, v24
	;; [unrolled: 1-line block ×9, first 2 shown]
; %bb.11:
	s_andn2_saveexec_b32 s1, s0
	s_cbranch_execz .LBB0_13
; %bb.12:
	s_add_u32 s4, s16, s4
	s_addc_u32 s5, s17, s5
	v_lshlrev_b64 v[1:2], 4, v[1:2]
	s_load_dwordx2 s[4:5], s[4:5], 0x0
	s_waitcnt lgkmcnt(0)
	v_mul_lo_u32 v6, s5, v30
	v_mul_lo_u32 v7, s4, v31
	v_mad_u64_u32 v[4:5], null, s4, v30, 0
	v_add3_u32 v5, v5, v7, v6
	v_mul_u32_u24_e32 v6, 0x5a, v3
	v_lshlrev_b64 v[3:4], 4, v[4:5]
	v_sub_nc_u32_e32 v24, v0, v6
	v_lshlrev_b32_e32 v25, 4, v24
	v_add_co_u32 v0, s0, s8, v3
	v_add_co_ci_u32_e64 v3, s0, s9, v4, s0
	v_add_co_u32 v0, s0, v0, v1
	v_add_co_ci_u32_e64 v1, s0, v3, v2, s0
	v_add_co_u32 v28, s0, v0, v25
	v_add_co_ci_u32_e64 v29, s0, 0, v1, s0
	s_clause 0x1
	global_load_dwordx4 v[0:3], v[28:29], off
	global_load_dwordx4 v[4:7], v[28:29], off offset:1440
	v_add_co_u32 v8, s0, 0x800, v28
	v_add_co_ci_u32_e64 v9, s0, 0, v29, s0
	v_add_co_u32 v16, s0, 0x1000, v28
	v_add_co_ci_u32_e64 v17, s0, 0, v29, s0
	;; [unrolled: 2-line block ×7, first 2 shown]
	s_clause 0x5
	global_load_dwordx4 v[8:11], v[8:9], off offset:832
	global_load_dwordx4 v[12:15], v[16:17], off offset:224
	global_load_dwordx4 v[16:19], v[16:17], off offset:1664
	global_load_dwordx4 v[20:23], v[20:21], off offset:1056
	global_load_dwordx4 v[40:43], v[32:33], off offset:448
	global_load_dwordx4 v[44:47], v[32:33], off offset:1888
	v_add_co_u32 v32, s0, 0x4000, v28
	v_add_co_ci_u32_e64 v33, s0, 0, v29, s0
	v_add_co_u32 v72, s0, 0x4800, v28
	v_add_co_ci_u32_e64 v73, s0, 0, v29, s0
	;; [unrolled: 2-line block ×3, first 2 shown]
	s_clause 0x5
	global_load_dwordx4 v[48:51], v[34:35], off offset:1280
	global_load_dwordx4 v[52:55], v[36:37], off offset:672
	;; [unrolled: 1-line block ×6, first 2 shown]
	v_add_co_u32 v32, s0, 0x5800, v28
	v_add_co_ci_u32_e64 v33, s0, 0, v29, s0
	v_add_co_u32 v34, s0, 0x6000, v28
	v_add_co_ci_u32_e64 v35, s0, 0, v29, s0
	;; [unrolled: 2-line block ×9, first 2 shown]
	v_add_co_u32 v28, s0, 0xa000, v28
	s_clause 0x1
	global_load_dwordx4 v[72:75], v[72:73], off offset:1728
	global_load_dwordx4 v[76:79], v[76:77], off offset:1120
	v_add_co_ci_u32_e64 v29, s0, 0, v29, s0
	s_clause 0xd
	global_load_dwordx4 v[80:83], v[32:33], off offset:512
	global_load_dwordx4 v[84:87], v[32:33], off offset:1952
	;; [unrolled: 1-line block ×14, first 2 shown]
	v_add_nc_u32_e32 v28, 0x5a, v24
	v_add_nc_u32_e32 v39, 0xb4, v24
	;; [unrolled: 1-line block ×10, first 2 shown]
	s_waitcnt vmcnt(29)
	ds_write_b128 v25, v[0:3]
	s_waitcnt vmcnt(28)
	ds_write_b128 v25, v[4:7] offset:1440
	s_waitcnt vmcnt(27)
	ds_write_b128 v25, v[8:11] offset:2880
	;; [unrolled: 2-line block ×29, first 2 shown]
.LBB0_13:
	s_or_b32 exec_lo, exec_lo, s1
	v_lshlrev_b32_e32 v25, 4, v24
	s_load_dwordx2 s[2:3], s[2:3], 0x0
	s_waitcnt lgkmcnt(0)
	s_barrier
	buffer_gl0_inv
	v_add_nc_u32_e32 v138, 0, v25
	s_mov_b32 s4, 0xe8584caa
	s_mov_b32 s5, 0x3febb67a
	;; [unrolled: 1-line block ×4, first 2 shown]
	ds_read_b128 v[0:3], v138
	ds_read_b128 v[8:11], v138 offset:15840
	ds_read_b128 v[12:15], v138 offset:14400
	;; [unrolled: 1-line block ×21, first 2 shown]
	s_waitcnt lgkmcnt(19)
	v_add_f64 v[110:111], v[2:3], v[14:15]
	v_add_f64 v[108:109], v[0:1], v[12:13]
	s_waitcnt lgkmcnt(17)
	v_add_f64 v[112:113], v[40:41], v[8:9]
	v_add_f64 v[114:115], v[42:43], v[10:11]
	s_waitcnt lgkmcnt(15)
	v_add_f64 v[116:117], v[44:45], v[16:17]
	v_add_f64 v[118:119], v[46:47], v[18:19]
	s_waitcnt lgkmcnt(14)
	v_add_f64 v[126:127], v[14:15], -v[22:23]
	s_waitcnt lgkmcnt(12)
	v_add_f64 v[120:121], v[52:53], v[48:49]
	v_add_f64 v[128:129], v[14:15], v[22:23]
	;; [unrolled: 1-line block ×3, first 2 shown]
	ds_read_b128 v[104:107], v138 offset:24480
	s_waitcnt lgkmcnt(11)
	v_add_f64 v[132:133], v[8:9], v[60:61]
	s_waitcnt lgkmcnt(8)
	v_add_f64 v[147:148], v[68:69], v[72:73]
	v_add_f64 v[134:135], v[10:11], -v[62:63]
	v_add_f64 v[136:137], v[10:11], v[62:63]
	v_add_f64 v[139:140], v[8:9], -v[60:61]
	v_add_f64 v[141:142], v[16:17], v[64:65]
	s_waitcnt lgkmcnt(3)
	v_add_f64 v[153:154], v[84:85], v[92:93]
	v_add_f64 v[143:144], v[18:19], -v[66:67]
	v_add_f64 v[145:146], v[18:19], v[66:67]
	v_add_f64 v[149:150], v[70:71], v[74:75]
	v_add_f64 v[151:152], v[16:17], -v[64:65]
	v_add_f64 v[124:125], v[12:13], v[20:21]
	v_add_f64 v[155:156], v[86:87], v[94:95]
	;; [unrolled: 1-line block ×4, first 2 shown]
	ds_read_b128 v[112:115], v138 offset:10080
	v_add_f64 v[64:65], v[116:117], v[64:65]
	s_waitcnt lgkmcnt(3)
	v_add_f64 v[163:164], v[88:89], v[96:97]
	v_add_f64 v[116:117], v[120:121], v[76:77]
	ds_read_b128 v[120:123], v138 offset:11520
	ds_read_b128 v[16:19], v138 offset:25920
	ds_read_b128 v[8:11], v138 offset:36000
	v_add_f64 v[130:131], v[12:13], -v[20:21]
	v_add_f64 v[66:67], v[118:119], v[66:67]
	v_add_f64 v[118:119], v[14:15], v[78:79]
	ds_read_b128 v[12:15], v138 offset:37440
	v_add_f64 v[157:158], v[48:49], v[76:77]
	v_add_f64 v[159:160], v[50:51], -v[78:79]
	v_add_f64 v[161:162], v[50:51], v[78:79]
	v_add_f64 v[165:166], v[90:91], v[98:99]
	v_add_f64 v[167:168], v[48:49], -v[76:77]
	v_add_f64 v[48:49], v[147:148], v[80:81]
	v_add_f64 v[108:109], v[108:109], v[20:21]
	v_add_f64 v[110:111], v[110:111], v[22:23]
	v_add_f64 v[50:51], v[149:150], v[82:83]
	v_add_f64 v[171:172], v[74:75], -v[82:83]
	s_waitcnt lgkmcnt(4)
	v_add_f64 v[147:148], v[112:113], v[104:105]
	ds_read_b128 v[20:23], v138 offset:38880
	v_add_f64 v[82:83], v[74:75], v[82:83]
	ds_read_b128 v[74:77], v138 offset:40320
	s_waitcnt lgkmcnt(4)
	v_add_f64 v[175:176], v[122:123], v[18:19]
	s_waitcnt lgkmcnt(3)
	v_add_f64 v[78:79], v[153:154], v[8:9]
	v_add_f64 v[153:154], v[92:93], v[8:9]
	v_add_f64 v[181:182], v[92:93], -v[8:9]
	v_add_f64 v[92:93], v[6:7], v[58:59]
	v_add_f64 v[149:150], v[114:115], v[106:107]
	;; [unrolled: 1-line block ×4, first 2 shown]
	v_add_f64 v[177:178], v[72:73], -v[80:81]
	v_add_f64 v[80:81], v[155:156], v[10:11]
	v_add_f64 v[155:156], v[94:95], -v[10:11]
	v_add_f64 v[179:180], v[94:95], v[10:11]
	v_add_f64 v[72:73], v[4:5], v[56:57]
	s_waitcnt lgkmcnt(2)
	v_add_f64 v[8:9], v[163:164], v[12:13]
	v_add_f64 v[163:164], v[96:97], v[12:13]
	v_add_f64 v[185:186], v[96:97], -v[12:13]
	v_fma_f64 v[94:95], v[124:125], -0.5, v[0:1]
	v_fma_f64 v[96:97], v[128:129], -0.5, v[2:3]
	v_add_f64 v[10:11], v[165:166], v[14:15]
	v_add_f64 v[165:166], v[98:99], -v[14:15]
	v_add_f64 v[183:184], v[98:99], v[14:15]
	s_waitcnt lgkmcnt(1)
	v_add_f64 v[12:13], v[147:148], v[20:21]
	v_add_f64 v[147:148], v[104:105], v[20:21]
	v_add_f64 v[104:105], v[104:105], -v[20:21]
	s_waitcnt lgkmcnt(0)
	v_add_f64 v[2:3], v[175:176], v[76:77]
	v_add_f64 v[20:21], v[18:19], -v[76:77]
	v_add_f64 v[76:77], v[18:19], v[76:77]
	v_add_f64 v[18:19], v[92:93], v[102:103]
	v_fma_f64 v[92:93], v[132:133], -0.5, v[40:41]
	v_fma_f64 v[98:99], v[136:137], -0.5, v[42:43]
	v_fma_f64 v[132:133], v[141:142], -0.5, v[44:45]
	v_fma_f64 v[46:47], v[145:146], -0.5, v[46:47]
	v_add_f64 v[14:15], v[149:150], v[22:23]
	v_add_f64 v[149:150], v[106:107], -v[22:23]
	v_add_f64 v[106:107], v[106:107], v[22:23]
	v_add_f64 v[0:1], v[173:174], v[74:75]
	;; [unrolled: 1-line block ×3, first 2 shown]
	v_add_f64 v[22:23], v[16:17], -v[74:75]
	v_add_f64 v[16:17], v[72:73], v[100:101]
	v_fma_f64 v[42:43], v[126:127], s[4:5], v[94:95]
	v_fma_f64 v[72:73], v[126:127], s[6:7], v[94:95]
	;; [unrolled: 1-line block ×4, first 2 shown]
	v_fma_f64 v[96:97], v[157:158], -0.5, v[52:53]
	v_fma_f64 v[126:127], v[161:162], -0.5, v[54:55]
	;; [unrolled: 1-line block ×4, first 2 shown]
	v_add_f64 v[128:129], v[56:57], v[100:101]
	v_add_f64 v[40:41], v[58:59], -v[102:103]
	v_add_f64 v[102:103], v[58:59], v[102:103]
	v_fma_f64 v[52:53], v[134:135], s[4:5], v[92:93]
	v_fma_f64 v[54:55], v[139:140], s[6:7], v[98:99]
	v_add_f64 v[100:101], v[56:57], -v[100:101]
	v_fma_f64 v[56:57], v[134:135], s[6:7], v[92:93]
	v_fma_f64 v[58:59], v[139:140], s[4:5], v[98:99]
	v_mad_u32_u24 v29, v24, 48, 0
	v_fma_f64 v[68:69], v[143:144], s[4:5], v[132:133]
	v_fma_f64 v[70:71], v[151:152], s[6:7], v[46:47]
	;; [unrolled: 1-line block ×4, first 2 shown]
	v_mad_i32_i24 v134, v28, 48, 0
	s_barrier
	buffer_gl0_inv
	ds_write_b128 v29, v[108:111]
	ds_write_b128 v29, v[42:45] offset:16
	ds_write_b128 v29, v[72:75] offset:32
	ds_write_b128 v134, v[60:63]
	v_fma_f64 v[42:43], v[159:160], s[4:5], v[96:97]
	v_fma_f64 v[44:45], v[167:168], s[6:7], v[126:127]
	;; [unrolled: 1-line block ×6, first 2 shown]
	ds_write_b128 v134, v[52:55] offset:16
	ds_write_b128 v134, v[56:59] offset:32
	v_fma_f64 v[46:47], v[153:154], -0.5, v[84:85]
	v_fma_f64 v[52:53], v[179:180], -0.5, v[86:87]
	v_mad_i32_i24 v29, v39, 48, 0
	v_fma_f64 v[54:55], v[163:164], -0.5, v[88:89]
	v_fma_f64 v[56:57], v[183:184], -0.5, v[90:91]
	;; [unrolled: 1-line block ×3, first 2 shown]
	v_fma_f64 v[98:99], v[177:178], s[4:5], v[82:83]
	ds_write_b128 v29, v[64:67]
	v_fma_f64 v[64:65], v[106:107], -0.5, v[114:115]
	v_mad_i32_i24 v82, v38, 48, 0
	ds_write_b128 v29, v[68:71] offset:16
	ds_write_b128 v29, v[92:95] offset:32
	v_mad_i32_i24 v29, v37, 48, 0
	v_fma_f64 v[96:97], v[171:172], s[6:7], v[130:131]
	ds_write_b128 v82, v[116:119]
	ds_write_b128 v82, v[42:45] offset:16
	v_fma_f64 v[66:67], v[124:125], -0.5, v[120:121]
	ds_write_b128 v82, v[60:63] offset:32
	ds_write_b128 v29, v[48:51]
	v_fma_f64 v[68:69], v[76:77], -0.5, v[122:123]
	ds_write_b128 v29, v[72:75] offset:16
	v_fma_f64 v[70:71], v[128:129], -0.5, v[4:5]
	v_fma_f64 v[72:73], v[102:103], -0.5, v[6:7]
	v_fma_f64 v[4:5], v[155:156], s[4:5], v[46:47]
	v_fma_f64 v[6:7], v[181:182], s[6:7], v[52:53]
	;; [unrolled: 1-line block ×4, first 2 shown]
	v_and_b32_e32 v147, 0xff, v24
	v_fma_f64 v[46:47], v[165:166], s[4:5], v[54:55]
	v_fma_f64 v[50:51], v[165:166], s[6:7], v[54:55]
	;; [unrolled: 1-line block ×8, first 2 shown]
	v_mul_lo_u16 v74, 0xab, v147
	ds_write_b128 v29, v[96:99] offset:32
	v_mad_i32_i24 v29, v36, 48, 0
	v_fma_f64 v[62:63], v[20:21], s[4:5], v[66:67]
	v_fma_f64 v[20:21], v[20:21], s[6:7], v[66:67]
	v_lshrrev_b16 v153, 9, v74
	v_fma_f64 v[64:65], v[22:23], s[6:7], v[68:69]
	v_fma_f64 v[22:23], v[22:23], s[4:5], v[68:69]
	;; [unrolled: 1-line block ×6, first 2 shown]
	ds_write_b128 v29, v[78:81]
	ds_write_b128 v29, v[4:7] offset:16
	ds_write_b128 v29, v[42:45] offset:32
	v_mul_lo_u16 v5, v153, 3
	v_mad_i32_i24 v140, v35, 48, 0
	v_mad_i32_i24 v4, v34, 48, 0
	;; [unrolled: 1-line block ×3, first 2 shown]
	v_mov_b32_e32 v146, 9
	v_sub_nc_u16 v154, v24, v5
	ds_write_b128 v140, v[8:11]
	ds_write_b128 v140, v[46:49] offset:16
	ds_write_b128 v140, v[50:53] offset:32
	ds_write_b128 v4, v[12:15]
	ds_write_b128 v4, v[54:57] offset:16
	ds_write_b128 v4, v[58:61] offset:32
	ds_write_b128 v6, v[0:3]
	v_mul_u32_u24_sdwa v0, v154, v146 dst_sel:DWORD dst_unused:UNUSED_PAD src0_sel:BYTE_0 src1_sel:DWORD
	v_mad_i32_i24 v139, v32, 48, 0
	ds_write_b128 v6, v[62:65] offset:16
	ds_write_b128 v6, v[20:23] offset:32
	ds_write_b128 v139, v[16:19]
	ds_write_b128 v139, v[66:69] offset:16
	v_lshlrev_b32_e32 v29, 4, v0
	v_and_b32_e32 v148, 0xff, v28
	v_lshl_add_u32 v141, v38, 4, 0
	ds_write_b128 v139, v[70:73] offset:32
	s_waitcnt lgkmcnt(0)
	s_barrier
	buffer_gl0_inv
	s_clause 0x2
	global_load_dwordx4 v[4:7], v29, s[12:13]
	global_load_dwordx4 v[0:3], v29, s[12:13] offset:16
	global_load_dwordx4 v[8:11], v29, s[12:13] offset:32
	v_mul_lo_u16 v20, 0xab, v148
	s_clause 0x1
	global_load_dwordx4 v[12:15], v29, s[12:13] offset:48
	global_load_dwordx4 v[16:19], v29, s[12:13] offset:64
	v_mov_b32_e32 v84, 0xaaab
	v_lshlrev_b32_e32 v142, 5, v32
	v_lshrrev_b16 v151, 9, v20
	s_clause 0x2
	global_load_dwordx4 v[20:23], v29, s[12:13] offset:80
	global_load_dwordx4 v[40:43], v29, s[12:13] offset:96
	;; [unrolled: 1-line block ×3, first 2 shown]
	v_mul_u32_u24_sdwa v88, v39, v84 dst_sel:DWORD dst_unused:UNUSED_PAD src0_sel:WORD_0 src1_sel:DWORD
	v_sub_nc_u32_e32 v143, v139, v142
	v_mul_lo_u16 v48, v151, 3
	s_mov_b32 s14, 0x134454ff
	s_mov_b32 s15, 0x3fee6f0e
	v_lshrrev_b32_e32 v149, 17, v88
	s_mov_b32 s17, 0xbfee6f0e
	v_sub_nc_u16 v152, v28, v48
	global_load_dwordx4 v[48:51], v29, s[12:13] offset:128
	v_lshlrev_b32_e32 v29, 5, v35
	v_mul_lo_u16 v98, v149, 3
	s_mov_b32 s16, s14
	v_mul_u32_u24_sdwa v52, v152, v146 dst_sel:DWORD dst_unused:UNUSED_PAD src0_sel:BYTE_0 src1_sel:DWORD
	s_mov_b32 s0, 0x4755a5e
	v_sub_nc_u32_e32 v144, v140, v29
	v_sub_nc_u16 v150, v39, v98
	s_mov_b32 s1, 0x3fe2cf23
	v_lshlrev_b32_e32 v145, 4, v52
	s_clause 0x7
	global_load_dwordx4 v[52:55], v145, s[12:13]
	global_load_dwordx4 v[56:59], v145, s[12:13] offset:16
	global_load_dwordx4 v[60:63], v145, s[12:13] offset:32
	;; [unrolled: 1-line block ×7, first 2 shown]
	ds_read_b128 v[76:79], v141
	ds_read_b128 v[88:91], v138 offset:17280
	ds_read_b128 v[80:83], v144
	ds_read_b128 v[84:87], v143
	ds_read_b128 v[92:95], v138 offset:21600
	ds_read_b128 v[120:123], v138 offset:31680
	;; [unrolled: 1-line block ×11, first 2 shown]
	global_load_dwordx4 v[191:194], v145, s[12:13] offset:128
	v_mul_u32_u24_sdwa v205, v150, v146 dst_sel:DWORD dst_unused:UNUSED_PAD src0_sel:WORD_0 src1_sel:DWORD
	ds_read_b128 v[179:182], v138 offset:28800
	ds_read_b128 v[183:186], v138 offset:33120
	;; [unrolled: 1-line block ×4, first 2 shown]
	v_lshlrev_b32_e32 v145, 4, v205
	s_mov_b32 s9, 0xbfe2cf23
	s_mov_b32 s8, s0
	;; [unrolled: 1-line block ×6, first 2 shown]
	s_waitcnt vmcnt(17) lgkmcnt(18)
	v_mul_f64 v[96:97], v[78:79], v[6:7]
	s_waitcnt vmcnt(16) lgkmcnt(16)
	v_mul_f64 v[98:99], v[82:83], v[2:3]
	;; [unrolled: 2-line block ×3, first 2 shown]
	v_mul_f64 v[10:11], v[84:85], v[10:11]
	s_waitcnt vmcnt(14)
	v_mul_f64 v[108:109], v[90:91], v[14:15]
	v_mul_f64 v[14:15], v[88:89], v[14:15]
	s_waitcnt vmcnt(13) lgkmcnt(14)
	v_mul_f64 v[110:111], v[94:95], v[18:19]
	v_mul_f64 v[18:19], v[92:93], v[18:19]
	;; [unrolled: 1-line block ×4, first 2 shown]
	v_fma_f64 v[134:135], v[76:77], v[4:5], -v[96:97]
	s_waitcnt vmcnt(12) lgkmcnt(12)
	v_mul_f64 v[96:97], v[102:103], v[22:23]
	v_mul_f64 v[22:23], v[100:101], v[22:23]
	v_fma_f64 v[2:3], v[80:81], v[0:1], -v[98:99]
	s_waitcnt vmcnt(11) lgkmcnt(11)
	v_mul_f64 v[80:81], v[126:127], v[42:43]
	v_mul_f64 v[42:43], v[124:125], v[42:43]
	v_fma_f64 v[199:200], v[84:85], v[8:9], -v[106:107]
	v_fma_f64 v[201:202], v[86:87], v[8:9], v[10:11]
	s_waitcnt vmcnt(10) lgkmcnt(10)
	v_mul_f64 v[8:9], v[132:133], v[46:47]
	v_mul_f64 v[10:11], v[130:131], v[46:47]
	v_fma_f64 v[106:107], v[88:89], v[12:13], -v[108:109]
	v_fma_f64 v[98:99], v[90:91], v[12:13], v[14:15]
	s_waitcnt vmcnt(9) lgkmcnt(9)
	v_mul_f64 v[12:13], v[157:158], v[50:51]
	v_mul_f64 v[14:15], v[155:156], v[50:51]
	v_fma_f64 v[128:129], v[94:95], v[16:17], v[18:19]
	s_waitcnt vmcnt(8) lgkmcnt(8)
	v_mul_f64 v[18:19], v[159:160], v[54:55]
	v_fma_f64 v[136:137], v[78:79], v[4:5], v[6:7]
	ds_read_b128 v[4:7], v138 offset:14400
	ds_read_b128 v[76:79], v138 offset:23040
	v_fma_f64 v[0:1], v[82:83], v[0:1], v[104:105]
	v_fma_f64 v[203:204], v[92:93], v[16:17], -v[110:111]
	v_mul_f64 v[16:17], v[161:162], v[54:55]
	v_fma_f64 v[108:109], v[100:101], v[20:21], -v[96:97]
	v_fma_f64 v[96:97], v[102:103], v[20:21], v[22:23]
	s_waitcnt vmcnt(7) lgkmcnt(8)
	v_mul_f64 v[20:21], v[169:170], v[58:59]
	v_mul_f64 v[22:23], v[167:168], v[58:59]
	v_fma_f64 v[110:111], v[124:125], v[40:41], -v[80:81]
	v_fma_f64 v[104:105], v[126:127], v[40:41], v[42:43]
	ds_read_b128 v[40:43], v138 offset:11520
	v_fma_f64 v[102:103], v[130:131], v[44:45], -v[8:9]
	v_fma_f64 v[100:101], v[132:133], v[44:45], v[10:11]
	ds_read_b128 v[44:47], v138 offset:15840
	v_fma_f64 v[94:95], v[155:156], v[48:49], -v[12:13]
	v_fma_f64 v[92:93], v[157:158], v[48:49], v[14:15]
	global_load_dwordx4 v[48:51], v145, s[12:13]
	s_waitcnt vmcnt(7) lgkmcnt(3)
	v_mul_f64 v[8:9], v[6:7], v[62:63]
	v_mul_f64 v[62:63], v[4:5], v[62:63]
	v_fma_f64 v[86:87], v[161:162], v[52:53], v[18:19]
	s_waitcnt vmcnt(5) lgkmcnt(2)
	v_mul_f64 v[18:19], v[78:79], v[70:71]
	v_mul_f64 v[70:71], v[76:77], v[70:71]
	;; [unrolled: 1-line block ×4, first 2 shown]
	v_fma_f64 v[84:85], v[159:160], v[52:53], -v[16:17]
	ds_read_b128 v[52:55], v138 offset:24480
	v_fma_f64 v[12:13], v[167:168], v[56:57], -v[20:21]
	v_fma_f64 v[10:11], v[169:170], v[56:57], v[22:23]
	s_waitcnt vmcnt(4)
	v_mul_f64 v[20:21], v[173:174], v[74:75]
	v_mul_f64 v[22:23], v[171:172], v[74:75]
	ds_read_b128 v[56:59], v138 offset:36000
	v_fma_f64 v[90:91], v[4:5], v[60:61], -v[8:9]
	v_fma_f64 v[88:89], v[6:7], v[60:61], v[62:63]
	s_clause 0x1
	global_load_dwordx4 v[60:63], v145, s[12:13] offset:16
	global_load_dwordx4 v[124:127], v145, s[12:13] offset:32
	s_waitcnt vmcnt(5)
	v_mul_f64 v[4:5], v[122:123], v[114:115]
	v_mul_f64 v[6:7], v[120:121], v[114:115]
	global_load_dwordx4 v[130:133], v145, s[12:13] offset:48
	v_fma_f64 v[80:81], v[76:77], v[68:69], -v[18:19]
	v_fma_f64 v[82:83], v[78:79], v[68:69], v[70:71]
	v_fma_f64 v[16:17], v[163:164], v[64:65], -v[14:15]
	v_fma_f64 v[14:15], v[165:166], v[64:65], v[66:67]
	ds_read_b128 v[155:158], v138 offset:37440
	global_load_dwordx4 v[159:162], v145, s[12:13] offset:80
	v_fma_f64 v[78:79], v[171:172], v[72:73], -v[20:21]
	v_fma_f64 v[76:77], v[173:174], v[72:73], v[22:23]
	global_load_dwordx4 v[70:73], v145, s[12:13] offset:64
	s_waitcnt vmcnt(7) lgkmcnt(1)
	v_mul_f64 v[8:9], v[58:59], v[118:119]
	v_mul_f64 v[22:23], v[56:57], v[118:119]
	v_add_f64 v[171:172], v[201:202], v[92:93]
	v_fma_f64 v[18:19], v[120:121], v[112:113], -v[4:5]
	v_fma_f64 v[20:21], v[122:123], v[112:113], v[6:7]
	s_clause 0x2
	global_load_dwordx4 v[112:115], v145, s[12:13] offset:96
	global_load_dwordx4 v[118:121], v145, s[12:13] offset:112
	;; [unrolled: 1-line block ×3, first 2 shown]
	s_waitcnt vmcnt(9)
	v_mul_f64 v[6:7], v[189:190], v[193:194]
	ds_read_b128 v[167:170], v138 offset:41760
	v_mov_b32_e32 v145, 4
	v_fma_f64 v[74:75], v[56:57], v[116:117], -v[8:9]
	v_fma_f64 v[4:5], v[58:59], v[116:117], v[22:23]
	v_mul_f64 v[22:23], v[187:188], v[193:194]
	v_add_f64 v[193:194], v[16:17], v[78:79]
	v_fma_f64 v[8:9], v[187:188], v[191:192], -v[6:7]
	v_add_f64 v[187:188], v[0:1], -v[100:101]
	v_fma_f64 v[6:7], v[189:190], v[191:192], v[22:23]
	v_add_f64 v[191:192], v[82:83], -v[20:21]
	s_waitcnt vmcnt(8)
	v_mul_f64 v[56:57], v[197:198], v[50:51]
	v_mul_f64 v[22:23], v[195:196], v[50:51]
	v_fma_f64 v[64:65], v[197:198], v[48:49], v[22:23]
	s_waitcnt vmcnt(7)
	v_mul_f64 v[50:51], v[42:43], v[62:63]
	v_mul_f64 v[58:59], v[40:41], v[62:63]
	s_waitcnt vmcnt(6)
	v_mul_f64 v[66:67], v[46:47], v[126:127]
	v_fma_f64 v[62:63], v[195:196], v[48:49], -v[56:57]
	v_mul_f64 v[48:49], v[44:45], v[126:127]
	s_waitcnt vmcnt(5)
	v_mul_f64 v[56:57], v[177:178], v[132:133]
	v_mul_f64 v[116:117], v[175:176], v[132:133]
	v_add_f64 v[132:133], v[0:1], v[100:101]
	s_waitcnt vmcnt(3)
	v_mul_f64 v[122:123], v[54:55], v[72:73]
	v_fma_f64 v[40:41], v[40:41], v[60:61], -v[50:51]
	v_fma_f64 v[22:23], v[42:43], v[60:61], v[58:59]
	v_mul_f64 v[42:43], v[52:53], v[72:73]
	v_mul_f64 v[50:51], v[181:182], v[161:162]
	v_fma_f64 v[68:69], v[44:45], v[124:125], -v[66:67]
	v_fma_f64 v[66:67], v[46:47], v[124:125], v[48:49]
	v_mul_f64 v[48:49], v[179:180], v[161:162]
	s_waitcnt vmcnt(2)
	v_mul_f64 v[60:61], v[185:186], v[114:115]
	v_mul_f64 v[72:73], v[183:184], v[114:115]
	s_waitcnt vmcnt(1) lgkmcnt(1)
	v_mul_f64 v[124:125], v[157:158], v[120:121]
	v_fma_f64 v[46:47], v[175:176], v[130:131], -v[56:57]
	v_fma_f64 v[44:45], v[177:178], v[130:131], v[116:117]
	ds_read_b128 v[114:117], v138
	v_mul_f64 v[120:121], v[155:156], v[120:121]
	s_waitcnt vmcnt(0) lgkmcnt(1)
	v_mul_f64 v[126:127], v[169:170], v[165:166]
	v_fma_f64 v[56:57], v[52:53], v[70:71], -v[122:123]
	v_mul_f64 v[122:123], v[167:168], v[165:166]
	v_add_f64 v[130:131], v[98:99], v[96:97]
	v_add_f64 v[161:162], v[199:200], -v[203:204]
	v_add_f64 v[165:166], v[94:95], -v[110:111]
	v_add_f64 v[177:178], v[203:204], v[110:111]
	v_fma_f64 v[58:59], v[54:55], v[70:71], v[42:43]
	v_fma_f64 v[54:55], v[179:180], v[159:160], -v[50:51]
	v_add_f64 v[179:180], v[199:200], v[94:95]
	v_fma_f64 v[52:53], v[181:182], v[159:160], v[48:49]
	v_fma_f64 v[48:49], v[183:184], v[112:113], -v[60:61]
	v_fma_f64 v[50:51], v[185:186], v[112:113], v[72:73]
	v_fma_f64 v[42:43], v[155:156], v[118:119], -v[124:125]
	v_add_f64 v[112:113], v[106:107], v[108:109]
	v_add_f64 v[124:125], v[2:3], v[102:103]
	v_add_f64 v[155:156], v[102:103], -v[108:109]
	v_fma_f64 v[60:61], v[157:158], v[118:119], v[120:121]
	v_add_f64 v[118:119], v[2:3], -v[106:107]
	v_add_f64 v[157:158], v[0:1], -v[98:99]
	v_add_f64 v[159:160], v[100:101], -v[96:97]
	v_fma_f64 v[70:71], v[167:168], v[163:164], -v[126:127]
	v_fma_f64 v[72:73], v[169:170], v[163:164], v[122:123]
	v_add_f64 v[163:164], v[201:202], -v[128:129]
	v_add_f64 v[167:168], v[92:93], -v[104:105]
	v_add_f64 v[169:170], v[128:129], v[104:105]
	s_waitcnt lgkmcnt(0)
	v_add_f64 v[173:174], v[114:115], v[2:3]
	v_add_f64 v[175:176], v[116:117], v[0:1]
	;; [unrolled: 1-line block ×3, first 2 shown]
	v_fma_f64 v[122:123], v[130:131], -0.5, v[116:117]
	v_add_f64 v[183:184], v[203:204], -v[199:200]
	v_add_f64 v[185:186], v[110:111], -v[94:95]
	;; [unrolled: 1-line block ×3, first 2 shown]
	v_fma_f64 v[120:121], v[112:113], -0.5, v[114:115]
	v_fma_f64 v[126:127], v[124:125], -0.5, v[114:115]
	;; [unrolled: 1-line block ×3, first 2 shown]
	v_add_f64 v[116:117], v[161:162], v[165:166]
	v_add_f64 v[114:115], v[118:119], v[155:156]
	;; [unrolled: 1-line block ×4, first 2 shown]
	v_add_f64 v[157:158], v[128:129], -v[201:202]
	v_add_f64 v[159:160], v[104:105], -v[92:93]
	;; [unrolled: 1-line block ×3, first 2 shown]
	v_add_f64 v[118:119], v[163:164], v[167:168]
	v_add_f64 v[161:162], v[106:107], -v[2:3]
	v_fma_f64 v[163:164], v[169:170], -0.5, v[136:137]
	v_fma_f64 v[136:137], v[171:172], -0.5, v[136:137]
	v_add_f64 v[165:166], v[108:109], -v[102:103]
	v_fma_f64 v[167:168], v[177:178], -0.5, v[134:135]
	v_fma_f64 v[169:170], v[179:180], -0.5, v[134:135]
	v_add_f64 v[134:135], v[203:204], -v[110:111]
	v_add_f64 v[171:172], v[173:174], v[106:107]
	v_add_f64 v[173:174], v[181:182], v[203:204]
	v_add_f64 v[177:178], v[128:129], -v[104:105]
	v_add_f64 v[175:176], v[175:176], v[98:99]
	v_add_f64 v[179:180], v[183:184], v[185:186]
	v_add_f64 v[106:107], v[106:107], -v[108:109]
	v_add_f64 v[185:186], v[98:99], -v[0:1]
	v_lshlrev_b32_sdwa v0, v145, v154 dst_sel:DWORD dst_unused:UNUSED_PAD src0_sel:DWORD src1_sel:BYTE_0
	v_add_f64 v[181:182], v[155:156], v[128:129]
	v_mov_b32_e32 v155, 0x1e0
	v_add_f64 v[128:129], v[157:158], v[159:160]
	v_mul_u32_u24_sdwa v189, v153, v155 dst_sel:DWORD dst_unused:UNUSED_PAD src0_sel:WORD_0 src1_sel:DWORD
	v_fma_f64 v[183:184], v[130:131], s[16:17], v[163:164]
	v_add_f64 v[158:159], v[161:162], v[165:166]
	v_fma_f64 v[156:157], v[132:133], s[14:15], v[167:168]
	v_fma_f64 v[167:168], v[132:133], s[16:17], v[167:168]
	;; [unrolled: 1-line block ×3, first 2 shown]
	v_add_f64 v[108:109], v[171:172], v[108:109]
	v_add_f64 v[110:111], v[173:174], v[110:111]
	v_fma_f64 v[165:166], v[177:178], s[16:17], v[169:170]
	v_add_f64 v[171:172], v[98:99], -v[96:97]
	v_add_f64 v[173:174], v[175:176], v[96:97]
	v_fma_f64 v[169:170], v[177:178], s[14:15], v[169:170]
	v_fma_f64 v[175:176], v[134:135], s[16:17], v[136:137]
	;; [unrolled: 1-line block ×3, first 2 shown]
	v_lshl_add_u32 v137, v28, 4, 0
	v_add_f64 v[104:105], v[181:182], v[104:105]
	v_add_f64 v[181:182], v[96:97], -v[100:101]
	v_add3_u32 v195, 0, v189, v0
	v_lshl_add_u32 v136, v39, 4, 0
	v_add_f64 v[189:190], v[80:81], -v[18:19]
	v_fma_f64 v[183:184], v[134:135], s[8:9], v[183:184]
	v_fma_f64 v[156:157], v[177:178], s[0:1], v[156:157]
	;; [unrolled: 1-line block ×3, first 2 shown]
	v_add_f64 v[160:161], v[2:3], -v[102:103]
	v_add_f64 v[102:103], v[108:109], v[102:103]
	v_fma_f64 v[164:165], v[132:133], s[0:1], v[165:166]
	v_fma_f64 v[108:109], v[171:172], s[16:17], v[126:127]
	v_add_f64 v[173:174], v[173:174], v[100:101]
	v_fma_f64 v[100:101], v[132:133], s[8:9], v[169:170]
	v_fma_f64 v[130:131], v[130:131], s[0:1], v[175:176]
	;; [unrolled: 1-line block ×6, first 2 shown]
	v_add_f64 v[110:111], v[110:111], v[94:95]
	v_add_f64 v[104:105], v[104:105], v[92:93]
	v_fma_f64 v[92:93], v[106:107], s[14:15], v[124:125]
	v_fma_f64 v[124:125], v[106:107], s[16:17], v[124:125]
	;; [unrolled: 1-line block ×4, first 2 shown]
	v_add_f64 v[177:178], v[185:186], v[181:182]
	ds_read_b128 v[96:99], v137
	ds_read_b128 v[0:3], v136
	v_fma_f64 v[156:157], v[116:117], s[18:19], v[156:157]
	s_waitcnt lgkmcnt(0)
	v_fma_f64 v[153:154], v[128:129], s[18:19], v[153:154]
	v_fma_f64 v[94:95], v[160:161], s[16:17], v[122:123]
	;; [unrolled: 1-line block ×5, first 2 shown]
	s_barrier
	v_fma_f64 v[168:169], v[179:180], s[18:19], v[100:101]
	v_fma_f64 v[128:129], v[128:129], s[18:19], v[130:131]
	v_fma_f64 v[116:117], v[116:117], s[18:19], v[132:133]
	v_fma_f64 v[126:127], v[187:188], s[8:9], v[126:127]
	v_fma_f64 v[118:119], v[118:119], s[18:19], v[134:135]
	v_fma_f64 v[166:167], v[171:172], s[0:1], v[166:167]
	v_add_f64 v[100:101], v[102:103], -v[110:111]
	buffer_gl0_inv
	v_fma_f64 v[183:184], v[160:161], s[8:9], v[92:93]
	v_fma_f64 v[124:125], v[160:161], s[0:1], v[124:125]
	;; [unrolled: 1-line block ×3, first 2 shown]
	v_mul_f64 v[132:133], v[162:163], s[0:1]
	v_add_f64 v[92:93], v[102:103], v[110:111]
	v_add_f64 v[102:103], v[173:174], -v[104:105]
	v_mul_f64 v[134:135], v[156:157], s[8:9]
	v_add_f64 v[175:176], v[80:81], v[18:19]
	v_mul_f64 v[179:180], v[153:154], s[14:15]
	v_fma_f64 v[181:182], v[106:107], s[8:9], v[94:95]
	v_fma_f64 v[106:107], v[106:107], s[0:1], v[122:123]
	v_mul_f64 v[185:186], v[164:165], s[16:17]
	v_add_f64 v[94:95], v[173:174], v[104:105]
	v_fma_f64 v[108:109], v[158:159], s[18:19], v[108:109]
	v_mul_f64 v[104:105], v[168:169], s[18:19]
	v_mul_f64 v[110:111], v[128:129], s[18:19]
	v_add_f64 v[130:131], v[90:91], -v[80:81]
	v_fma_f64 v[122:123], v[158:159], s[18:19], v[126:127]
	v_mul_f64 v[126:127], v[116:117], s[20:21]
	v_fma_f64 v[166:167], v[114:115], s[18:19], v[166:167]
	v_add_f64 v[158:159], v[82:83], v[20:21]
	v_add_f64 v[160:161], v[8:9], -v[18:19]
	v_add_f64 v[172:173], v[6:7], -v[20:21]
	v_fma_f64 v[124:125], v[177:178], s[18:19], v[124:125]
	v_add_f64 v[187:188], v[88:89], -v[6:7]
	v_fma_f64 v[132:133], v[156:157], s[20:21], v[132:133]
	v_mul_f64 v[156:157], v[118:119], s[20:21]
	ds_write_b128 v195, v[100:103] offset:240
	v_fma_f64 v[134:135], v[162:163], s[20:21], v[134:135]
	v_fma_f64 v[174:175], v[175:176], -0.5, v[84:85]
	v_fma_f64 v[162:163], v[164:165], s[18:19], v[179:180]
	v_fma_f64 v[170:171], v[112:113], s[18:19], v[181:182]
	;; [unrolled: 1-line block ×4, first 2 shown]
	v_add_f64 v[177:178], v[88:89], v[6:7]
	v_fma_f64 v[181:182], v[114:115], s[18:19], v[120:121]
	v_add_f64 v[120:121], v[90:91], v[8:9]
	v_fma_f64 v[183:184], v[112:113], s[18:19], v[106:107]
	v_fma_f64 v[128:129], v[128:129], s[14:15], -v[104:105]
	v_fma_f64 v[168:169], v[168:169], s[16:17], -v[110:111]
	;; [unrolled: 1-line block ×3, first 2 shown]
	ds_write_b128 v195, v[92:95]
	v_add_f64 v[164:165], v[88:89], -v[82:83]
	v_add_f64 v[185:186], v[90:91], -v[8:9]
	v_fma_f64 v[158:159], v[158:159], -0.5, v[86:87]
	v_add_f64 v[130:131], v[130:131], v[160:161]
	v_add_f64 v[160:161], v[20:21], -v[6:7]
	v_add_f64 v[92:93], v[166:167], v[132:133]
	v_fma_f64 v[156:157], v[116:117], s[8:9], -v[156:157]
	v_add_f64 v[104:105], v[166:167], -v[132:133]
	v_add_f64 v[132:133], v[96:97], v[12:13]
	v_add_f64 v[100:101], v[108:109], v[162:163]
	;; [unrolled: 1-line block ×3, first 2 shown]
	v_add_f64 v[106:107], v[170:171], -v[134:135]
	v_add_f64 v[102:103], v[179:180], v[153:154]
	v_fma_f64 v[166:167], v[177:178], -0.5, v[86:87]
	v_add_f64 v[110:111], v[179:180], -v[153:154]
	v_fma_f64 v[153:154], v[120:121], -0.5, v[84:85]
	v_add_f64 v[134:135], v[98:99], v[10:11]
	v_add_f64 v[112:113], v[122:123], v[128:129]
	v_add_f64 v[114:115], v[124:125], v[168:169]
	v_add_f64 v[116:117], v[122:123], -v[128:129]
	v_add_f64 v[118:119], v[124:125], -v[168:169]
	v_add_f64 v[120:121], v[181:182], v[126:127]
	v_add_f64 v[124:125], v[181:182], -v[126:127]
	v_add_f64 v[128:129], v[12:13], v[74:75]
	;; [unrolled: 2-line block ×3, first 2 shown]
	v_add_f64 v[86:87], v[86:87], v[88:89]
	v_add_f64 v[122:123], v[183:184], v[156:157]
	v_add_f64 v[126:127], v[183:184], -v[156:157]
	v_add_f64 v[156:157], v[14:15], v[76:77]
	v_add_f64 v[90:91], v[80:81], -v[90:91]
	v_add_f64 v[88:89], v[82:83], -v[88:89]
	ds_write_b128 v195, v[92:95] offset:48
	v_add_f64 v[94:95], v[10:11], v[4:5]
	v_fma_f64 v[92:93], v[185:186], s[16:17], v[158:159]
	ds_write_b128 v195, v[100:103] offset:96
	v_fma_f64 v[100:101], v[187:188], s[14:15], v[174:175]
	v_add_f64 v[102:103], v[18:19], -v[8:9]
	v_add_f64 v[162:163], v[164:165], v[172:173]
	v_add_f64 v[132:133], v[132:133], v[16:17]
	ds_write_b128 v195, v[112:115] offset:144
	v_fma_f64 v[112:113], v[189:190], s[14:15], v[166:167]
	v_fma_f64 v[114:115], v[191:192], s[16:17], v[153:154]
	v_fma_f64 v[164:165], v[193:194], -0.5, v[96:97]
	v_fma_f64 v[153:154], v[191:192], s[14:15], v[153:154]
	v_fma_f64 v[166:167], v[189:190], s[16:17], v[166:167]
	v_fma_f64 v[96:97], v[128:129], -0.5, v[96:97]
	v_add_f64 v[134:135], v[134:135], v[14:15]
	ds_write_b128 v195, v[120:123] offset:192
	ds_write_b128 v195, v[104:107] offset:288
	v_add_f64 v[104:105], v[10:11], -v[4:5]
	v_fma_f64 v[128:129], v[156:157], -0.5, v[98:99]
	v_add_f64 v[106:107], v[12:13], -v[74:75]
	v_add_f64 v[80:81], v[84:85], v[80:81]
	v_add_f64 v[82:83], v[86:87], v[82:83]
	v_fma_f64 v[94:95], v[94:95], -0.5, v[98:99]
	v_fma_f64 v[98:99], v[187:188], s[16:17], v[174:175]
	v_fma_f64 v[92:93], v[189:190], s[8:9], v[92:93]
	;; [unrolled: 1-line block ×3, first 2 shown]
	v_add_f64 v[84:85], v[90:91], v[102:103]
	v_add_f64 v[86:87], v[88:89], v[160:161]
	v_add_f64 v[102:103], v[14:15], -v[76:77]
	v_fma_f64 v[158:159], v[185:186], s[14:15], v[158:159]
	v_fma_f64 v[88:89], v[185:186], s[8:9], v[112:113]
	;; [unrolled: 1-line block ×3, first 2 shown]
	v_add_f64 v[112:113], v[16:17], -v[78:79]
	v_add_f64 v[114:115], v[132:133], v[78:79]
	v_fma_f64 v[122:123], v[187:188], s[8:9], v[153:154]
	v_fma_f64 v[132:133], v[185:186], s[0:1], v[166:167]
	v_add_f64 v[120:121], v[134:135], v[76:77]
	v_add_f64 v[134:135], v[12:13], -v[16:17]
	v_add_f64 v[153:154], v[74:75], -v[78:79]
	;; [unrolled: 1-line block ×4, first 2 shown]
	v_fma_f64 v[166:167], v[104:105], s[14:15], v[164:165]
	v_fma_f64 v[168:169], v[106:107], s[16:17], v[128:129]
	v_add_f64 v[12:13], v[16:17], -v[12:13]
	v_add_f64 v[16:17], v[78:79], -v[74:75]
	v_fma_f64 v[98:99], v[191:192], s[8:9], v[98:99]
	v_fma_f64 v[92:93], v[162:163], s[18:19], v[92:93]
	;; [unrolled: 1-line block ×3, first 2 shown]
	v_add_f64 v[10:11], v[14:15], -v[10:11]
	v_add_f64 v[14:15], v[76:77], -v[4:5]
	v_add_f64 v[20:21], v[82:83], v[20:21]
	v_add_f64 v[18:19], v[80:81], v[18:19]
	v_fma_f64 v[76:77], v[86:87], s[18:19], v[88:89]
	v_fma_f64 v[78:79], v[84:85], s[18:19], v[90:91]
	;; [unrolled: 1-line block ×9, first 2 shown]
	v_add_f64 v[80:81], v[114:115], v[74:75]
	v_add_f64 v[82:83], v[134:135], v[153:154]
	;; [unrolled: 1-line block ×3, first 2 shown]
	v_fma_f64 v[122:123], v[104:105], s[16:17], v[164:165]
	v_fma_f64 v[134:135], v[102:103], s[0:1], v[166:167]
	;; [unrolled: 1-line block ×4, first 2 shown]
	v_mul_f64 v[74:75], v[92:93], s[0:1]
	v_mul_f64 v[130:131], v[100:101], s[8:9]
	v_add_f64 v[12:13], v[12:13], v[16:17]
	v_add_f64 v[10:11], v[10:11], v[14:15]
	ds_write_b128 v195, v[108:111] offset:336
	v_add_f64 v[6:7], v[20:21], v[6:7]
	v_fma_f64 v[20:21], v[106:107], s[14:15], v[128:129]
	v_mul_f64 v[16:17], v[78:79], s[16:17]
	v_fma_f64 v[88:89], v[104:105], s[0:1], v[88:89]
	v_fma_f64 v[90:91], v[106:107], s[8:9], v[90:91]
	;; [unrolled: 1-line block ×4, first 2 shown]
	v_mul_f64 v[104:105], v[84:85], s[18:19]
	v_mul_f64 v[14:15], v[76:77], s[14:15]
	v_fma_f64 v[106:107], v[162:163], s[18:19], v[132:133]
	v_mul_f64 v[156:157], v[86:87], s[18:19]
	v_add_f64 v[8:9], v[18:19], v[8:9]
	ds_write_b128 v195, v[116:119] offset:384
	v_fma_f64 v[102:103], v[102:103], s[8:9], v[122:123]
	v_fma_f64 v[110:111], v[82:83], s[18:19], v[134:135]
	ds_write_b128 v195, v[124:127] offset:432
	v_mul_f64 v[108:109], v[98:99], s[20:21]
	v_fma_f64 v[100:101], v[100:101], s[20:21], v[74:75]
	v_fma_f64 v[92:93], v[92:93], s[20:21], v[130:131]
	v_fma_f64 v[116:117], v[114:115], s[18:19], v[153:154]
	v_add_f64 v[122:123], v[56:57], v[48:49]
	v_add_f64 v[124:125], v[58:59], v[50:51]
	;; [unrolled: 1-line block ×3, first 2 shown]
	v_fma_f64 v[20:21], v[112:113], s[0:1], v[20:21]
	v_fma_f64 v[16:17], v[76:77], s[18:19], v[16:17]
	v_add_f64 v[18:19], v[120:121], v[4:5]
	v_fma_f64 v[90:91], v[10:11], s[18:19], v[90:91]
	v_fma_f64 v[96:97], v[12:13], s[18:19], v[96:97]
	;; [unrolled: 1-line block ×3, first 2 shown]
	v_fma_f64 v[104:105], v[86:87], s[14:15], -v[104:105]
	v_fma_f64 v[118:119], v[78:79], s[18:19], v[14:15]
	v_mul_f64 v[112:113], v[106:107], s[20:21]
	v_fma_f64 v[94:95], v[10:11], s[18:19], v[94:95]
	v_fma_f64 v[120:121], v[84:85], s[16:17], -v[156:157]
	v_add_f64 v[74:75], v[80:81], v[8:9]
	v_add_f64 v[4:5], v[80:81], -v[8:9]
	v_fma_f64 v[102:103], v[82:83], s[18:19], v[102:103]
	v_mul_u32_u24_sdwa v161, v151, v155 dst_sel:DWORD dst_unused:UNUSED_PAD src0_sel:WORD_0 src1_sel:DWORD
	v_fma_f64 v[106:107], v[106:107], s[0:1], -v[108:109]
	v_add_f64 v[108:109], v[66:67], v[72:73]
	v_add_f64 v[78:79], v[110:111], v[100:101]
	;; [unrolled: 1-line block ×3, first 2 shown]
	v_add_f64 v[12:13], v[110:111], -v[100:101]
	v_add_f64 v[14:15], v[116:117], -v[92:93]
	v_fma_f64 v[92:93], v[124:125], -0.5, v[64:65]
	v_add_f64 v[100:101], v[66:67], -v[72:73]
	v_add_f64 v[110:111], v[58:59], -v[50:51]
	v_add_f64 v[76:77], v[18:19], v[6:7]
	v_add_f64 v[84:85], v[90:91], v[16:17]
	v_add_f64 v[10:11], v[90:91], -v[16:17]
	v_fma_f64 v[90:91], v[122:123], -0.5, v[62:63]
	v_add_f64 v[86:87], v[96:97], v[104:105]
	v_add_f64 v[16:17], v[96:97], -v[104:105]
	v_add_f64 v[96:97], v[68:69], -v[70:71]
	v_fma_f64 v[98:99], v[98:99], s[8:9], -v[112:113]
	v_add_f64 v[104:105], v[56:57], -v[48:49]
	v_fma_f64 v[112:113], v[126:127], -0.5, v[62:63]
	v_add_f64 v[6:7], v[18:19], -v[6:7]
	v_add_f64 v[82:83], v[88:89], v[118:119]
	v_add_f64 v[8:9], v[88:89], -v[118:119]
	v_add_f64 v[88:89], v[94:95], v[120:121]
	v_fma_f64 v[108:109], v[108:109], -0.5, v[64:65]
	v_add_f64 v[18:19], v[94:95], -v[120:121]
	v_fma_f64 v[94:95], v[114:115], s[18:19], v[20:21]
	v_add_f64 v[114:115], v[46:47], v[54:55]
	v_add_f64 v[116:117], v[40:41], v[42:43]
	;; [unrolled: 1-line block ×4, first 2 shown]
	v_lshlrev_b32_sdwa v162, v145, v152 dst_sel:DWORD dst_unused:UNUSED_PAD src0_sel:DWORD src1_sel:BYTE_0
	v_add_f64 v[122:123], v[44:45], v[52:53]
	v_add_f64 v[124:125], v[22:23], v[60:61]
	v_add_f64 v[126:127], v[68:69], -v[56:57]
	v_add_f64 v[128:129], v[70:71], -v[48:49]
	;; [unrolled: 1-line block ×4, first 2 shown]
	v_fma_f64 v[134:135], v[96:97], s[16:17], v[92:93]
	v_fma_f64 v[151:152], v[100:101], s[14:15], v[90:91]
	v_add_f64 v[62:63], v[62:63], v[68:69]
	v_add_f64 v[64:65], v[64:65], v[66:67]
	v_add_f64 v[68:69], v[56:57], -v[68:69]
	v_add_f64 v[153:154], v[48:49], -v[70:71]
	;; [unrolled: 1-line block ×4, first 2 shown]
	v_fma_f64 v[157:158], v[104:105], s[14:15], v[108:109]
	v_fma_f64 v[159:160], v[110:111], s[16:17], v[112:113]
	;; [unrolled: 1-line block ×6, first 2 shown]
	v_fma_f64 v[114:115], v[114:115], -0.5, v[0:1]
	v_fma_f64 v[0:1], v[116:117], -0.5, v[0:1]
	v_add_f64 v[116:117], v[118:119], v[46:47]
	v_add_f64 v[118:119], v[120:121], v[44:45]
	v_fma_f64 v[120:121], v[122:123], -0.5, v[2:3]
	v_fma_f64 v[2:3], v[124:125], -0.5, v[2:3]
	v_add_f64 v[122:123], v[126:127], v[128:129]
	v_add_f64 v[124:125], v[130:131], v[132:133]
	v_fma_f64 v[126:127], v[104:105], s[8:9], v[134:135]
	v_fma_f64 v[128:129], v[110:111], s[0:1], v[151:152]
	v_add_f64 v[130:131], v[22:23], -v[60:61]
	v_add_f64 v[132:133], v[40:41], -v[42:43]
	v_add_f64 v[56:57], v[62:63], v[56:57]
	v_add_f64 v[58:59], v[64:65], v[58:59]
	;; [unrolled: 1-line block ×4, first 2 shown]
	v_fma_f64 v[66:67], v[96:97], s[8:9], v[157:158]
	v_fma_f64 v[68:69], v[100:101], s[0:1], v[159:160]
	v_add_f64 v[134:135], v[44:45], -v[52:53]
	v_fma_f64 v[100:101], v[100:101], s[8:9], v[112:113]
	v_fma_f64 v[96:97], v[96:97], s[0:1], v[108:109]
	;; [unrolled: 1-line block ×4, first 2 shown]
	v_add_f64 v[151:152], v[46:47], -v[54:55]
	v_add_f64 v[116:117], v[116:117], v[54:55]
	v_add_f64 v[118:119], v[118:119], v[52:53]
	v_add_f64 v[108:109], v[40:41], -v[46:47]
	v_add_f64 v[112:113], v[42:43], -v[54:55]
	;; [unrolled: 1-line block ×4, first 2 shown]
	v_fma_f64 v[126:127], v[124:125], s[18:19], v[126:127]
	v_fma_f64 v[128:129], v[122:123], s[18:19], v[128:129]
	;; [unrolled: 1-line block ×4, first 2 shown]
	v_add_f64 v[40:41], v[46:47], -v[40:41]
	v_add_f64 v[46:47], v[54:55], -v[42:43]
	;; [unrolled: 1-line block ×4, first 2 shown]
	v_fma_f64 v[52:53], v[64:65], s[18:19], v[66:67]
	v_fma_f64 v[54:55], v[62:63], s[18:19], v[68:69]
	;; [unrolled: 1-line block ×12, first 2 shown]
	v_add_f64 v[48:49], v[56:57], v[48:49]
	v_add_f64 v[50:51], v[58:59], v[50:51]
	;; [unrolled: 1-line block ×4, first 2 shown]
	v_mul_f64 v[104:105], v[126:127], s[0:1]
	v_mul_f64 v[108:109], v[128:129], s[8:9]
	v_fma_f64 v[110:111], v[134:135], s[0:1], v[153:154]
	v_fma_f64 v[112:113], v[151:152], s[8:9], v[155:156]
	v_add_f64 v[40:41], v[40:41], v[46:47]
	v_add_f64 v[44:45], v[22:23], v[44:45]
	v_mul_f64 v[46:47], v[52:53], s[14:15]
	v_mul_f64 v[114:115], v[54:55], s[16:17]
	v_fma_f64 v[66:67], v[130:131], s[0:1], v[66:67]
	v_fma_f64 v[0:1], v[130:131], s[8:9], v[0:1]
	v_mul_f64 v[120:121], v[62:63], s[18:19]
	v_mul_f64 v[122:123], v[64:65], s[18:19]
	v_fma_f64 v[96:97], v[134:135], s[8:9], v[96:97]
	v_fma_f64 v[100:101], v[151:152], s[0:1], v[100:101]
	;; [unrolled: 4-line block ×3, first 2 shown]
	v_add_f64 v[116:117], v[116:117], v[42:43]
	v_add_f64 v[60:61], v[118:119], v[60:61]
	;; [unrolled: 1-line block ×4, first 2 shown]
	v_fma_f64 v[70:71], v[128:129], s[20:21], v[104:105]
	v_fma_f64 v[72:73], v[126:127], s[20:21], v[108:109]
	;; [unrolled: 1-line block ×4, first 2 shown]
	v_add_f64 v[20:21], v[102:103], v[106:107]
	v_add_f64 v[22:23], v[94:95], v[98:99]
	v_fma_f64 v[110:111], v[54:55], s[18:19], v[46:47]
	v_fma_f64 v[112:113], v[52:53], s[18:19], v[114:115]
	;; [unrolled: 1-line block ×4, first 2 shown]
	v_fma_f64 v[120:121], v[64:65], s[14:15], -v[120:121]
	v_fma_f64 v[122:123], v[62:63], s[16:17], -v[122:123]
	v_fma_f64 v[96:97], v[56:57], s[18:19], v[96:97]
	v_fma_f64 v[100:101], v[58:59], s[18:19], v[100:101]
	v_fma_f64 v[92:93], v[92:93], s[0:1], -v[124:125]
	v_fma_f64 v[90:91], v[90:91], s[8:9], -v[130:131]
	v_fma_f64 v[68:69], v[44:45], s[18:19], v[68:69]
	v_fma_f64 v[118:119], v[44:45], s[18:19], v[2:3]
	v_add3_u32 v132, 0, v161, v162
	v_add_f64 v[0:1], v[102:103], -v[106:107]
	v_add_f64 v[2:3], v[94:95], -v[98:99]
	ds_write_b128 v132, v[74:77]
	ds_write_b128 v132, v[78:81] offset:48
	ds_write_b128 v132, v[82:85] offset:96
	;; [unrolled: 1-line block ×3, first 2 shown]
	v_mul_lo_u16 v80, 0x89, v147
	v_add_f64 v[40:41], v[116:117], v[48:49]
	v_add_f64 v[42:43], v[60:61], v[50:51]
	v_add_f64 v[44:45], v[116:117], -v[48:49]
	v_add_f64 v[46:47], v[60:61], -v[50:51]
	v_lshrrev_b16 v147, 12, v80
	v_add_f64 v[48:49], v[104:105], v[70:71]
	v_add_f64 v[50:51], v[108:109], v[72:73]
	v_add_f64 v[52:53], v[104:105], -v[70:71]
	v_add_f64 v[54:55], v[108:109], -v[72:73]
	v_add_f64 v[56:57], v[66:67], v[110:111]
	v_add_f64 v[60:61], v[66:67], -v[110:111]
	v_add_f64 v[76:77], v[96:97], -v[92:93]
	;; [unrolled: 1-line block ×3, first 2 shown]
	v_add_f64 v[58:59], v[68:69], v[112:113]
	v_add_f64 v[62:63], v[68:69], -v[112:113]
	v_add_f64 v[64:65], v[114:115], v[120:121]
	v_add_f64 v[66:67], v[118:119], v[122:123]
	ds_write_b128 v132, v[20:23] offset:192
	ds_write_b128 v132, v[4:7] offset:240
	;; [unrolled: 1-line block ×3, first 2 shown]
	v_mul_lo_u16 v5, v147, 30
	v_add_f64 v[68:69], v[96:97], v[92:93]
	v_add_f64 v[70:71], v[100:101], v[90:91]
	v_add_f64 v[72:73], v[114:115], -v[120:121]
	v_add_f64 v[74:75], v[118:119], -v[122:123]
	v_mul_u32_u24_e32 v81, 0x1e0, v149
	v_lshlrev_b32_sdwa v82, v145, v150 dst_sel:DWORD dst_unused:UNUSED_PAD src0_sel:DWORD src1_sel:WORD_0
	v_sub_nc_u16 v149, v24, v5
	v_add3_u32 v4, 0, v81, v82
	ds_write_b128 v132, v[8:11] offset:336
	ds_write_b128 v132, v[16:19] offset:384
	ds_write_b128 v132, v[0:3] offset:432
	ds_write_b128 v4, v[40:43]
	v_mul_u32_u24_sdwa v0, v149, v146 dst_sel:DWORD dst_unused:UNUSED_PAD src0_sel:BYTE_0 src1_sel:DWORD
	ds_write_b128 v4, v[48:51] offset:48
	ds_write_b128 v4, v[56:59] offset:96
	;; [unrolled: 1-line block ×4, first 2 shown]
	v_lshlrev_b32_e32 v16, 4, v0
	ds_write_b128 v4, v[44:47] offset:240
	ds_write_b128 v4, v[52:55] offset:288
	;; [unrolled: 1-line block ×5, first 2 shown]
	s_waitcnt lgkmcnt(0)
	s_barrier
	buffer_gl0_inv
	s_clause 0x4
	global_load_dwordx4 v[4:7], v16, s[12:13] offset:432
	global_load_dwordx4 v[0:3], v16, s[12:13] offset:448
	;; [unrolled: 1-line block ×5, first 2 shown]
	v_mul_lo_u16 v17, 0x89, v148
	s_clause 0x3
	global_load_dwordx4 v[40:43], v16, s[12:13] offset:512
	global_load_dwordx4 v[44:47], v16, s[12:13] offset:528
	;; [unrolled: 1-line block ×4, first 2 shown]
	v_lshrrev_b16 v132, 12, v17
	v_mov_b32_e32 v16, 0x8889
	v_mul_lo_u16 v17, v132, 30
	v_mul_u32_u24_sdwa v16, v39, v16 dst_sel:DWORD dst_unused:UNUSED_PAD src0_sel:WORD_0 src1_sel:DWORD
	v_sub_nc_u16 v133, v28, v17
	v_lshrrev_b32_e32 v134, 20, v16
	v_mul_u32_u24_sdwa v17, v133, v146 dst_sel:DWORD dst_unused:UNUSED_PAD src0_sel:BYTE_0 src1_sel:DWORD
	v_mul_lo_u16 v16, v134, 30
	v_lshlrev_b32_e32 v18, 4, v17
	s_clause 0x7
	global_load_dwordx4 v[56:59], v18, s[12:13] offset:432
	global_load_dwordx4 v[60:63], v18, s[12:13] offset:448
	;; [unrolled: 1-line block ×8, first 2 shown]
	ds_read_b128 v[80:83], v141
	ds_read_b128 v[96:99], v144
	;; [unrolled: 1-line block ×3, first 2 shown]
	ds_read_b128 v[114:117], v138 offset:31680
	ds_read_b128 v[106:109], v138 offset:17280
	;; [unrolled: 1-line block ×5, first 2 shown]
	v_sub_nc_u16 v135, v39, v16
	ds_read_b128 v[126:129], v138 offset:30240
	ds_read_b128 v[150:153], v138 offset:20160
	global_load_dwordx4 v[154:157], v18, s[12:13] offset:560
	ds_read_b128 v[158:161], v138 offset:34560
	ds_read_b128 v[166:169], v138 offset:27360
	s_waitcnt vmcnt(17) lgkmcnt(11)
	v_mul_f64 v[16:17], v[82:83], v[6:7]
	v_mul_f64 v[6:7], v[80:81], v[6:7]
	s_waitcnt vmcnt(16) lgkmcnt(10)
	v_mul_f64 v[84:85], v[98:99], v[2:3]
	v_mul_f64 v[90:91], v[96:97], v[2:3]
	v_mul_u32_u24_sdwa v2, v135, v146 dst_sel:DWORD dst_unused:UNUSED_PAD src0_sel:WORD_0 src1_sel:DWORD
	s_waitcnt vmcnt(15) lgkmcnt(9)
	v_mul_f64 v[100:101], v[104:105], v[10:11]
	v_mul_f64 v[10:11], v[102:103], v[10:11]
	s_waitcnt vmcnt(14) lgkmcnt(7)
	v_mul_f64 v[130:131], v[108:109], v[14:15]
	v_mul_f64 v[174:175], v[106:107], v[14:15]
	v_lshlrev_b32_e32 v146, 4, v2
	s_waitcnt vmcnt(13) lgkmcnt(5)
	v_mul_f64 v[176:177], v[112:113], v[22:23]
	v_mul_f64 v[22:23], v[110:111], v[22:23]
	global_load_dwordx4 v[162:165], v146, s[12:13] offset:432
	v_fma_f64 v[18:19], v[80:81], v[4:5], -v[16:17]
	v_fma_f64 v[14:15], v[82:83], v[4:5], v[6:7]
	ds_read_b128 v[80:83], v138 offset:38880
	v_fma_f64 v[2:3], v[96:97], v[0:1], -v[84:85]
	v_fma_f64 v[0:1], v[98:99], v[0:1], v[90:91]
	s_waitcnt vmcnt(13) lgkmcnt(5)
	v_mul_f64 v[6:7], v[120:121], v[42:43]
	v_mul_f64 v[42:43], v[118:119], v[42:43]
	s_waitcnt vmcnt(12) lgkmcnt(4)
	v_mul_f64 v[84:85], v[128:129], v[46:47]
	v_mul_f64 v[46:47], v[126:127], v[46:47]
	;; [unrolled: 3-line block ×3, first 2 shown]
	ds_read_b128 v[96:99], v138 offset:5760
	ds_read_b128 v[170:173], v138 offset:28800
	v_fma_f64 v[102:103], v[102:103], v[8:9], -v[100:101]
	v_fma_f64 v[16:17], v[104:105], v[8:9], v[10:11]
	v_fma_f64 v[8:9], v[106:107], v[12:13], -v[130:131]
	v_fma_f64 v[4:5], v[108:109], v[12:13], v[174:175]
	v_fma_f64 v[130:131], v[110:111], v[20:21], -v[176:177]
	ds_read_b128 v[104:107], v138 offset:33120
	v_fma_f64 v[190:191], v[112:113], v[20:21], v[22:23]
	ds_read_b128 v[20:23], v138 offset:10080
	ds_read_b128 v[108:111], v138 offset:40320
	global_load_dwordx4 v[174:177], v146, s[12:13] offset:448
	s_waitcnt vmcnt(11) lgkmcnt(5)
	v_mul_f64 v[112:113], v[82:83], v[54:55]
	v_mul_f64 v[54:55], v[80:81], v[54:55]
	v_fma_f64 v[12:13], v[118:119], v[40:41], -v[6:7]
	v_fma_f64 v[10:11], v[120:121], v[40:41], v[42:43]
	global_load_dwordx4 v[118:121], v146, s[12:13] offset:464
	ds_read_b128 v[40:43], v138 offset:7200
	s_waitcnt vmcnt(11) lgkmcnt(5)
	v_mul_f64 v[182:183], v[98:99], v[58:59]
	v_mul_f64 v[58:59], v[96:97], v[58:59]
	v_fma_f64 v[192:193], v[126:127], v[44:45], -v[84:85]
	v_fma_f64 v[194:195], v[128:129], v[44:45], v[46:47]
	ds_read_b128 v[126:129], v138 offset:11520
	ds_read_b128 v[44:47], v138 offset:14400
	v_fma_f64 v[100:101], v[158:159], v[48:49], -v[90:91]
	v_fma_f64 v[6:7], v[160:161], v[48:49], v[50:51]
	s_clause 0x1
	global_load_dwordx4 v[158:161], v146, s[12:13] offset:480
	global_load_dwordx4 v[178:181], v146, s[12:13] offset:496
	s_waitcnt vmcnt(12) lgkmcnt(4)
	v_mul_f64 v[48:49], v[22:23], v[62:63]
	v_mul_f64 v[50:51], v[20:21], v[62:63]
	v_fma_f64 v[196:197], v[80:81], v[52:53], -v[112:113]
	v_fma_f64 v[198:199], v[82:83], v[52:53], v[54:55]
	ds_read_b128 v[52:55], v138 offset:15840
	v_fma_f64 v[96:97], v[96:97], v[56:57], -v[182:183]
	v_fma_f64 v[84:85], v[98:99], v[56:57], v[58:59]
	s_clause 0x1
	global_load_dwordx4 v[56:59], v146, s[12:13] offset:512
	global_load_dwordx4 v[182:185], v146, s[12:13] offset:528
	s_waitcnt vmcnt(13) lgkmcnt(1)
	v_mul_f64 v[80:81], v[46:47], v[66:67]
	v_mul_f64 v[82:83], v[44:45], v[66:67]
	global_load_dwordx4 v[186:189], v146, s[12:13] offset:560
	v_fma_f64 v[66:67], v[20:21], v[60:61], -v[48:49]
	v_fma_f64 v[62:63], v[22:23], v[60:61], v[50:51]
	ds_read_b128 v[20:23], v138 offset:23040
	v_fma_f64 v[98:99], v[44:45], v[64:65], -v[80:81]
	v_fma_f64 v[90:91], v[46:47], v[64:65], v[82:83]
	s_waitcnt vmcnt(13)
	v_mul_f64 v[44:45], v[124:125], v[70:71]
	v_mul_f64 v[46:47], v[122:123], v[70:71]
	v_fma_f64 v[70:71], v[122:123], v[68:69], -v[44:45]
	v_fma_f64 v[68:69], v[124:125], v[68:69], v[46:47]
	ds_read_b128 v[122:125], v138 offset:24480
	s_waitcnt vmcnt(12) lgkmcnt(1)
	v_mul_f64 v[44:45], v[22:23], v[74:75]
	v_mul_f64 v[46:47], v[20:21], v[74:75]
	v_fma_f64 v[82:83], v[20:21], v[72:73], -v[44:45]
	v_fma_f64 v[80:81], v[22:23], v[72:73], v[46:47]
	s_waitcnt vmcnt(11)
	v_mul_f64 v[20:21], v[168:169], v[78:79]
	v_mul_f64 v[22:23], v[166:167], v[78:79]
	s_waitcnt vmcnt(10)
	v_mul_f64 v[44:45], v[116:117], v[88:89]
	v_mul_f64 v[46:47], v[114:115], v[88:89]
	v_fma_f64 v[78:79], v[166:167], v[76:77], -v[20:21]
	v_fma_f64 v[72:73], v[168:169], v[76:77], v[22:23]
	global_load_dwordx4 v[166:169], v146, s[12:13] offset:544
	ds_read_b128 v[20:23], v138 offset:36000
	v_fma_f64 v[74:75], v[114:115], v[86:87], -v[44:45]
	ds_read_b128 v[112:115], v138 offset:37440
	v_fma_f64 v[76:77], v[116:117], v[86:87], v[46:47]
	v_add_f64 v[116:117], v[14:15], v[16:17]
	s_waitcnt vmcnt(10) lgkmcnt(1)
	v_mul_f64 v[44:45], v[22:23], v[94:95]
	v_mul_f64 v[46:47], v[20:21], v[94:95]
	v_add_f64 v[116:117], v[116:117], v[190:191]
	v_fma_f64 v[86:87], v[20:21], v[92:93], -v[44:45]
	s_waitcnt vmcnt(9)
	v_mul_f64 v[20:21], v[110:111], v[156:157]
	v_fma_f64 v[88:89], v[22:23], v[92:93], v[46:47]
	v_mul_f64 v[22:23], v[108:109], v[156:157]
	v_add_f64 v[156:157], v[102:103], v[196:197]
	v_add_f64 v[116:117], v[116:117], v[194:195]
	v_fma_f64 v[92:93], v[108:109], v[154:155], -v[20:21]
	v_add_f64 v[108:109], v[18:19], v[102:103]
	v_fma_f64 v[94:95], v[110:111], v[154:155], v[22:23]
	v_add_f64 v[154:155], v[130:131], v[192:193]
	s_waitcnt vmcnt(8)
	v_mul_f64 v[44:45], v[42:43], v[164:165]
	v_mul_f64 v[20:21], v[40:41], v[164:165]
	v_add_f64 v[164:165], v[198:199], -v[194:195]
	v_fma_f64 v[46:47], v[40:41], v[162:163], -v[44:45]
	v_fma_f64 v[48:49], v[42:43], v[162:163], v[20:21]
	v_add_f64 v[162:163], v[16:17], -v[190:191]
	s_waitcnt vmcnt(7)
	v_mul_f64 v[22:23], v[128:129], v[176:177]
	v_mul_f64 v[50:51], v[126:127], v[176:177]
	v_add_f64 v[176:177], v[194:195], -v[198:199]
	s_waitcnt vmcnt(6)
	v_mul_f64 v[60:61], v[54:55], v[120:121]
	v_mul_f64 v[40:41], v[52:53], v[120:121]
	s_waitcnt vmcnt(5)
	v_mul_f64 v[42:43], v[152:153], v[160:161]
	v_mul_f64 v[44:45], v[150:151], v[160:161]
	;; [unrolled: 3-line block ×3, first 2 shown]
	v_fma_f64 v[22:23], v[126:127], v[174:175], -v[22:23]
	v_fma_f64 v[20:21], v[128:129], v[174:175], v[50:51]
	v_add_f64 v[126:127], v[190:191], v[194:195]
	v_add_f64 v[128:129], v[2:3], v[100:101]
	v_add_f64 v[160:161], v[190:191], -v[194:195]
	v_add_f64 v[162:163], v[162:163], v[164:165]
	v_fma_f64 v[52:53], v[52:53], v[118:119], -v[60:61]
	v_fma_f64 v[50:51], v[54:55], v[118:119], v[40:41]
	s_waitcnt vmcnt(3)
	v_mul_f64 v[60:61], v[172:173], v[58:59]
	v_mul_f64 v[58:59], v[170:171], v[58:59]
	s_waitcnt vmcnt(2)
	v_mul_f64 v[118:119], v[106:107], v[184:185]
	v_mul_f64 v[120:121], v[104:105], v[184:185]
	v_fma_f64 v[42:43], v[150:151], v[158:159], -v[42:43]
	v_fma_f64 v[40:41], v[152:153], v[158:159], v[44:45]
	v_fma_f64 v[44:45], v[122:123], v[178:179], -v[64:65]
	v_add_f64 v[122:123], v[108:109], v[130:131]
	v_fma_f64 v[54:55], v[124:125], v[178:179], v[110:111]
	v_add_f64 v[124:125], v[8:9], v[12:13]
	v_add_f64 v[150:151], v[4:5], v[10:11]
	;; [unrolled: 1-line block ×4, first 2 shown]
	ds_read_b128 v[108:111], v138
	v_add_f64 v[178:179], v[116:117], v[198:199]
	v_fma_f64 v[64:65], v[170:171], v[56:57], -v[60:61]
	v_fma_f64 v[60:61], v[172:173], v[56:57], v[58:59]
	v_fma_f64 v[56:57], v[104:105], v[182:183], -v[118:119]
	v_fma_f64 v[58:59], v[106:107], v[182:183], v[120:121]
	ds_read_b128 v[104:107], v138 offset:41760
	v_fma_f64 v[120:121], v[126:127], -0.5, v[14:15]
	v_add_f64 v[118:119], v[122:123], v[192:193]
	v_add_f64 v[122:123], v[102:103], -v[196:197]
	s_waitcnt lgkmcnt(1)
	v_fma_f64 v[124:125], v[124:125], -0.5, v[108:109]
	v_fma_f64 v[126:127], v[128:129], -0.5, v[108:109]
	;; [unrolled: 1-line block ×3, first 2 shown]
	v_add_f64 v[108:109], v[108:109], v[2:3]
	v_add_f64 v[150:151], v[110:111], v[0:1]
	v_fma_f64 v[110:111], v[152:153], -0.5, v[110:111]
	v_fma_f64 v[152:153], v[154:155], -0.5, v[18:19]
	v_add_f64 v[154:155], v[16:17], -v[198:199]
	v_fma_f64 v[18:19], v[156:157], -0.5, v[18:19]
	v_add_f64 v[156:157], v[130:131], -v[192:193]
	;; [unrolled: 2-line block ×3, first 2 shown]
	v_add_f64 v[102:103], v[130:131], -v[102:103]
	v_add_f64 v[130:131], v[196:197], -v[192:193]
	;; [unrolled: 1-line block ×3, first 2 shown]
	v_add_f64 v[170:171], v[118:119], v[196:197]
	v_add_f64 v[118:119], v[192:193], -v[196:197]
	v_fma_f64 v[172:173], v[122:123], s[16:17], v[120:121]
	v_fma_f64 v[120:121], v[122:123], s[14:15], v[120:121]
	v_add_f64 v[108:109], v[108:109], v[8:9]
	v_add_f64 v[150:151], v[150:151], v[4:5]
	v_fma_f64 v[174:175], v[154:155], s[14:15], v[152:153]
	v_fma_f64 v[116:117], v[160:161], s[16:17], v[18:19]
	;; [unrolled: 1-line block ×6, first 2 shown]
	v_add_f64 v[130:131], v[158:159], v[130:131]
	v_add_f64 v[158:159], v[2:3], -v[8:9]
	v_add_f64 v[16:17], v[16:17], v[176:177]
	v_add_f64 v[176:177], v[0:1], -v[6:7]
	v_add_f64 v[102:103], v[102:103], v[118:119]
	v_fma_f64 v[172:173], v[156:157], s[8:9], v[172:173]
	v_add_f64 v[118:119], v[100:101], -v[12:13]
	v_add_f64 v[108:109], v[108:109], v[12:13]
	v_add_f64 v[150:151], v[150:151], v[10:11]
	v_fma_f64 v[174:175], v[160:161], s[0:1], v[174:175]
	v_fma_f64 v[116:117], v[154:155], s[0:1], v[116:117]
	;; [unrolled: 1-line block ×3, first 2 shown]
	v_add_f64 v[154:155], v[2:3], -v[100:101]
	v_fma_f64 v[164:165], v[122:123], s[8:9], v[164:165]
	v_fma_f64 v[14:15], v[122:123], s[0:1], v[14:15]
	v_add_f64 v[122:123], v[4:5], -v[10:11]
	v_fma_f64 v[152:153], v[160:161], s[8:9], v[152:153]
	v_add_f64 v[160:161], v[8:9], -v[12:13]
	v_add_f64 v[2:3], v[8:9], -v[2:3]
	;; [unrolled: 1-line block ×5, first 2 shown]
	v_fma_f64 v[172:173], v[162:163], s[18:19], v[172:173]
	v_add_f64 v[118:119], v[158:159], v[118:119]
	v_fma_f64 v[4:5], v[176:177], s[14:15], v[124:125]
	v_fma_f64 v[124:125], v[176:177], s[16:17], v[124:125]
	v_add_f64 v[158:159], v[108:109], v[100:101]
	v_fma_f64 v[100:101], v[156:157], s[0:1], v[120:121]
	v_add_f64 v[108:109], v[6:7], -v[10:11]
	v_add_f64 v[10:11], v[10:11], -v[6:7]
	v_fma_f64 v[120:121], v[130:131], s[18:19], v[174:175]
	v_fma_f64 v[116:117], v[102:103], s[18:19], v[116:117]
	;; [unrolled: 1-line block ×11, first 2 shown]
	s_waitcnt vmcnt(0)
	v_mul_f64 v[130:131], v[114:115], v[168:169]
	v_fma_f64 v[128:129], v[154:155], s[14:15], v[128:129]
	v_mul_f64 v[102:103], v[172:173], s[0:1]
	v_add_f64 v[2:3], v[2:3], v[8:9]
	v_fma_f64 v[4:5], v[122:123], s[0:1], v[4:5]
	v_add_f64 v[6:7], v[150:151], v[6:7]
	v_mul_f64 v[150:151], v[112:113], v[168:169]
	v_fma_f64 v[182:183], v[122:123], s[8:9], v[124:125]
	v_fma_f64 v[162:163], v[162:163], s[18:19], v[100:101]
	v_add_f64 v[12:13], v[12:13], v[108:109]
	v_add_f64 v[0:1], v[0:1], v[10:11]
	v_mul_f64 v[100:101], v[120:121], s[8:9]
	v_mul_f64 v[10:11], v[116:117], s[16:17]
	s_waitcnt lgkmcnt(0)
	v_mul_f64 v[168:169], v[106:107], v[188:189]
	v_fma_f64 v[108:109], v[160:161], s[8:9], v[156:157]
	v_mul_f64 v[8:9], v[164:165], s[14:15]
	v_mul_f64 v[180:181], v[14:15], s[18:19]
	v_fma_f64 v[156:157], v[176:177], s[0:1], v[174:175]
	v_fma_f64 v[176:177], v[176:177], s[8:9], v[126:127]
	v_fma_f64 v[16:17], v[154:155], s[8:9], v[16:17]
	v_fma_f64 v[110:111], v[154:155], s[0:1], v[110:111]
	v_mul_f64 v[154:155], v[18:19], s[18:19]
	v_mul_f64 v[184:185], v[152:153], s[20:21]
	v_fma_f64 v[160:161], v[160:161], s[0:1], v[128:129]
	v_fma_f64 v[174:175], v[120:121], s[20:21], v[102:103]
	v_mul_f64 v[188:189], v[104:105], v[188:189]
	v_fma_f64 v[192:193], v[118:119], s[18:19], v[4:5]
	v_add_f64 v[4:5], v[158:159], -v[170:171]
	v_fma_f64 v[102:103], v[114:115], v[166:167], v[150:151]
	v_mul_f64 v[190:191], v[162:163], s[20:21]
	v_fma_f64 v[172:173], v[172:173], s[20:21], v[100:101]
	v_fma_f64 v[100:101], v[112:113], v[166:167], -v[130:131]
	v_fma_f64 v[126:127], v[164:165], s[18:19], v[10:11]
	v_fma_f64 v[194:195], v[12:13], s[18:19], v[108:109]
	;; [unrolled: 1-line block ×3, first 2 shown]
	v_fma_f64 v[112:113], v[18:19], s[16:17], -v[180:181]
	v_fma_f64 v[122:123], v[2:3], s[18:19], v[156:157]
	v_fma_f64 v[124:125], v[2:3], s[18:19], v[176:177]
	;; [unrolled: 1-line block ×4, first 2 shown]
	v_fma_f64 v[130:131], v[14:15], s[14:15], -v[154:155]
	v_fma_f64 v[110:111], v[118:119], s[18:19], v[182:183]
	v_fma_f64 v[114:115], v[162:163], s[0:1], -v[184:185]
	v_add_f64 v[8:9], v[158:159], v[170:171]
	v_add_f64 v[10:11], v[6:7], v[178:179]
	v_fma_f64 v[116:117], v[12:13], s[18:19], v[160:161]
	v_add_f64 v[158:159], v[82:83], v[74:75]
	v_add_f64 v[160:161], v[80:81], v[76:77]
	;; [unrolled: 1-line block ×3, first 2 shown]
	v_fma_f64 v[118:119], v[152:153], s[8:9], -v[190:191]
	v_add_f64 v[6:7], v[6:7], -v[178:179]
	v_add_f64 v[0:1], v[192:193], -v[174:175]
	v_fma_f64 v[104:105], v[104:105], v[186:187], -v[168:169]
	v_add_f64 v[162:163], v[62:63], v[88:89]
	v_add_f64 v[164:165], v[80:81], -v[90:91]
	v_add_f64 v[14:15], v[194:195], v[172:173]
	v_add_f64 v[2:3], v[194:195], -v[172:173]
	v_mov_b32_e32 v172, 0x12c0
	v_add_f64 v[16:17], v[122:123], v[120:121]
	v_add_f64 v[120:121], v[122:123], -v[120:121]
	v_add_f64 v[18:19], v[128:129], v[126:127]
	v_add_f64 v[122:123], v[128:129], -v[126:127]
	;; [unrolled: 2-line block ×3, first 2 shown]
	v_add_f64 v[124:125], v[90:91], v[94:95]
	v_add_f64 v[130:131], v[98:99], v[92:93]
	;; [unrolled: 1-line block ×3, first 2 shown]
	v_mul_u32_u24_sdwa v146, v147, v172 dst_sel:DWORD dst_unused:UNUSED_PAD src0_sel:WORD_0 src1_sel:DWORD
	v_lshlrev_b32_sdwa v147, v145, v149 dst_sel:DWORD dst_unused:UNUSED_PAD src0_sel:DWORD src1_sel:BYTE_0
	v_add_f64 v[154:155], v[110:111], v[114:115]
	v_add_f64 v[152:153], v[108:109], -v[112:113]
	v_add_f64 v[156:157], v[116:117], v[118:119]
	v_add_f64 v[108:109], v[110:111], -v[114:115]
	v_add3_u32 v173, 0, v146, v147
	v_add_f64 v[110:111], v[116:117], -v[118:119]
	ds_read_b128 v[112:115], v137
	ds_read_b128 v[116:119], v136
	s_waitcnt lgkmcnt(0)
	v_fma_f64 v[146:147], v[158:159], -0.5, v[96:97]
	v_fma_f64 v[148:149], v[160:161], -0.5, v[84:85]
	v_add_f64 v[158:159], v[98:99], -v[92:93]
	v_add_f64 v[160:161], v[90:91], -v[94:95]
	s_barrier
	buffer_gl0_inv
	ds_write_b128 v173, v[8:11]
	ds_write_b128 v173, v[12:15] offset:480
	ds_write_b128 v173, v[16:19] offset:960
	;; [unrolled: 1-line block ×3, first 2 shown]
	v_add_f64 v[8:9], v[82:83], -v[74:75]
	v_add_f64 v[10:11], v[80:81], -v[76:77]
	v_fma_f64 v[12:13], v[124:125], -0.5, v[84:85]
	v_fma_f64 v[14:15], v[130:131], -0.5, v[96:97]
	v_add_f64 v[16:17], v[70:71], v[78:79]
	ds_write_b128 v173, v[4:7] offset:2400
	v_add_f64 v[6:7], v[66:67], v[86:87]
	ds_write_b128 v173, v[154:157] offset:1920
	v_add_f64 v[4:5], v[112:113], v[66:67]
	v_add_f64 v[18:19], v[68:69], v[72:73]
	v_add_f64 v[124:125], v[98:99], -v[82:83]
	v_add_f64 v[126:127], v[92:93], -v[74:75]
	v_add_f64 v[128:129], v[90:91], -v[80:81]
	v_add_f64 v[130:131], v[94:95], -v[76:77]
	ds_write_b128 v173, v[0:3] offset:2880
	v_fma_f64 v[154:155], v[158:159], s[16:17], v[148:149]
	v_fma_f64 v[156:157], v[160:161], s[14:15], v[146:147]
	v_add_f64 v[2:3], v[96:97], v[98:99]
	v_add_f64 v[96:97], v[82:83], -v[98:99]
	v_add_f64 v[98:99], v[74:75], -v[92:93]
	;; [unrolled: 1-line block ×3, first 2 shown]
	v_add_f64 v[0:1], v[114:115], v[62:63]
	v_add_f64 v[84:85], v[84:85], v[90:91]
	ds_write_b128 v173, v[120:123] offset:3360
	v_fma_f64 v[168:169], v[8:9], s[14:15], v[12:13]
	v_fma_f64 v[170:171], v[10:11], s[16:17], v[14:15]
	v_fma_f64 v[16:17], v[16:17], -0.5, v[112:113]
	v_fma_f64 v[14:15], v[10:11], s[14:15], v[14:15]
	v_fma_f64 v[12:13], v[8:9], s[16:17], v[12:13]
	v_fma_f64 v[6:7], v[6:7], -0.5, v[112:113]
	v_add_f64 v[4:5], v[4:5], v[70:71]
	v_fma_f64 v[18:19], v[18:19], -0.5, v[114:115]
	v_fma_f64 v[114:115], v[162:163], -0.5, v[114:115]
	v_add_f64 v[90:91], v[124:125], v[126:127]
	v_fma_f64 v[124:125], v[160:161], s[16:17], v[146:147]
	v_add_f64 v[112:113], v[128:129], v[130:131]
	v_add_f64 v[126:127], v[62:63], -v[88:89]
	v_fma_f64 v[120:121], v[8:9], s[8:9], v[154:155]
	v_fma_f64 v[122:123], v[10:11], s[0:1], v[156:157]
	v_add_f64 v[128:129], v[66:67], -v[86:87]
	v_add_f64 v[2:3], v[2:3], v[82:83]
	v_add_f64 v[82:83], v[96:97], v[98:99]
	;; [unrolled: 1-line block ×3, first 2 shown]
	v_add_f64 v[146:147], v[68:69], -v[72:73]
	v_add_f64 v[154:155], v[70:71], -v[78:79]
	v_add_f64 v[0:1], v[0:1], v[68:69]
	v_fma_f64 v[98:99], v[158:159], s[8:9], v[168:169]
	v_fma_f64 v[130:131], v[160:161], s[0:1], v[170:171]
	v_add_f64 v[80:81], v[84:85], v[80:81]
	v_fma_f64 v[14:15], v[160:161], s[8:9], v[14:15]
	v_fma_f64 v[12:13], v[158:159], s[0:1], v[12:13]
	v_add_f64 v[84:85], v[66:67], -v[70:71]
	v_add_f64 v[4:5], v[4:5], v[78:79]
	v_add_f64 v[156:157], v[86:87], -v[78:79]
	v_add_f64 v[160:161], v[62:63], -v[68:69]
	;; [unrolled: 1-line block ×3, first 2 shown]
	v_fma_f64 v[148:149], v[158:159], s[14:15], v[148:149]
	v_fma_f64 v[10:11], v[10:11], s[8:9], v[124:125]
	;; [unrolled: 1-line block ×6, first 2 shown]
	v_add_f64 v[66:67], v[70:71], -v[66:67]
	v_add_f64 v[70:71], v[78:79], -v[86:87]
	;; [unrolled: 1-line block ×4, first 2 shown]
	v_fma_f64 v[164:165], v[154:155], s[14:15], v[114:115]
	v_fma_f64 v[114:115], v[154:155], s[16:17], v[114:115]
	;; [unrolled: 1-line block ×6, first 2 shown]
	v_add_f64 v[0:1], v[0:1], v[72:73]
	v_add_f64 v[2:3], v[2:3], v[74:75]
	;; [unrolled: 1-line block ×3, first 2 shown]
	v_fma_f64 v[14:15], v[82:83], s[18:19], v[14:15]
	v_fma_f64 v[12:13], v[96:97], s[18:19], v[12:13]
	v_add_f64 v[74:75], v[84:85], v[156:157]
	v_add_f64 v[76:77], v[160:161], v[162:163]
	v_fma_f64 v[16:17], v[126:127], s[16:17], v[16:17]
	v_fma_f64 v[8:9], v[8:9], s[0:1], v[148:149]
	;; [unrolled: 1-line block ×3, first 2 shown]
	v_mul_f64 v[10:11], v[120:121], s[0:1]
	v_mul_f64 v[82:83], v[122:123], s[8:9]
	v_fma_f64 v[84:85], v[146:147], s[0:1], v[124:125]
	v_fma_f64 v[90:91], v[154:155], s[8:9], v[158:159]
	v_add_f64 v[66:67], v[66:67], v[70:71]
	v_add_f64 v[62:63], v[62:63], v[68:69]
	v_fma_f64 v[106:107], v[106:107], v[186:187], v[188:189]
	v_fma_f64 v[114:115], v[128:129], s[0:1], v[114:115]
	v_mul_f64 v[68:69], v[78:79], s[14:15]
	v_mul_f64 v[70:71], v[98:99], s[16:17]
	v_fma_f64 v[96:97], v[126:127], s[0:1], v[130:131]
	v_fma_f64 v[124:125], v[128:129], s[8:9], v[164:165]
	;; [unrolled: 1-line block ×3, first 2 shown]
	v_add_f64 v[4:5], v[4:5], v[86:87]
	v_add_f64 v[86:87], v[0:1], v[88:89]
	;; [unrolled: 1-line block ×4, first 2 shown]
	v_fma_f64 v[18:19], v[128:129], s[14:15], v[18:19]
	v_mul_f64 v[126:127], v[14:15], s[18:19]
	v_mul_f64 v[130:131], v[12:13], s[18:19]
	v_fma_f64 v[16:17], v[146:147], s[8:9], v[16:17]
	v_fma_f64 v[8:9], v[112:113], s[18:19], v[8:9]
	v_mul_f64 v[92:93], v[80:81], s[20:21]
	ds_write_b128 v173, v[150:153] offset:3840
	ds_write_b128 v173, v[108:111] offset:4320
	v_fma_f64 v[94:95], v[122:123], s[20:21], v[10:11]
	v_fma_f64 v[82:83], v[120:121], s[20:21], v[82:83]
	v_fma_f64 v[84:85], v[74:75], s[18:19], v[84:85]
	v_fma_f64 v[90:91], v[76:77], s[18:19], v[90:91]
	v_add_f64 v[112:113], v[44:45], v[56:57]
	v_fma_f64 v[108:109], v[62:63], s[18:19], v[114:115]
	v_fma_f64 v[68:69], v[98:99], s[18:19], v[68:69]
	;; [unrolled: 1-line block ×4, first 2 shown]
	v_add_f64 v[114:115], v[54:55], v[58:59]
	v_fma_f64 v[96:97], v[62:63], s[18:19], v[124:125]
	v_fma_f64 v[98:99], v[66:67], s[18:19], v[6:7]
	v_mul_u32_u24_sdwa v160, v132, v172 dst_sel:DWORD dst_unused:UNUSED_PAD src0_sel:WORD_0 src1_sel:DWORD
	v_add_f64 v[0:1], v[4:5], v[88:89]
	v_add_f64 v[2:3], v[86:87], v[72:73]
	v_fma_f64 v[120:121], v[154:155], s[0:1], v[18:19]
	v_add_f64 v[4:5], v[4:5], -v[88:89]
	v_add_f64 v[6:7], v[86:87], -v[72:73]
	v_add_f64 v[86:87], v[50:51], v[106:107]
	v_add_f64 v[88:89], v[52:53], v[104:105]
	v_fma_f64 v[62:63], v[12:13], s[14:15], -v[126:127]
	v_fma_f64 v[110:111], v[14:15], s[16:17], -v[130:131]
	v_fma_f64 v[122:123], v[74:75], s[18:19], v[16:17]
	v_mul_f64 v[74:75], v[8:9], s[20:21]
	v_fma_f64 v[92:93], v[8:9], s[0:1], -v[92:93]
	v_add_f64 v[8:9], v[84:85], v[94:95]
	v_add_f64 v[10:11], v[90:91], v[82:83]
	v_add_f64 v[12:13], v[84:85], -v[94:95]
	v_add_f64 v[14:15], v[90:91], -v[82:83]
	;; [unrolled: 1-line block ×3, first 2 shown]
	v_add_f64 v[16:17], v[78:79], v[68:69]
	v_add_f64 v[66:67], v[78:79], -v[68:69]
	v_fma_f64 v[78:79], v[112:113], -0.5, v[46:47]
	v_fma_f64 v[82:83], v[114:115], -0.5, v[48:49]
	v_add_f64 v[90:91], v[50:51], -v[106:107]
	v_add_f64 v[18:19], v[96:97], v[70:71]
	v_add_f64 v[68:69], v[96:97], -v[70:71]
	v_fma_f64 v[94:95], v[76:77], s[18:19], v[120:121]
	v_add_f64 v[76:77], v[44:45], -v[56:57]
	v_add_f64 v[96:97], v[54:55], -v[58:59]
	v_fma_f64 v[86:87], v[86:87], -0.5, v[48:49]
	v_fma_f64 v[88:89], v[88:89], -0.5, v[46:47]
	v_add_f64 v[70:71], v[98:99], v[62:63]
	v_add_f64 v[62:63], v[98:99], -v[62:63]
	v_add_f64 v[98:99], v[42:43], v[64:65]
	v_add_f64 v[112:113], v[22:23], v[100:101]
	;; [unrolled: 1-line block ×3, first 2 shown]
	v_lshlrev_b32_sdwa v161, v145, v133 dst_sel:DWORD dst_unused:UNUSED_PAD src0_sel:DWORD src1_sel:BYTE_0
	v_add_f64 v[124:125], v[40:41], v[60:61]
	v_add_f64 v[126:127], v[20:21], v[102:103]
	v_add_f64 v[128:129], v[52:53], -v[44:45]
	v_add_f64 v[130:131], v[104:105], -v[56:57]
	;; [unrolled: 1-line block ×4, first 2 shown]
	v_add_f64 v[114:115], v[116:117], v[22:23]
	v_fma_f64 v[148:149], v[84:85], s[16:17], v[82:83]
	v_fma_f64 v[150:151], v[90:91], s[14:15], v[78:79]
	v_add_f64 v[46:47], v[46:47], v[52:53]
	v_add_f64 v[48:49], v[48:49], v[50:51]
	v_add_f64 v[52:53], v[44:45], -v[52:53]
	v_add_f64 v[152:153], v[56:57], -v[104:105]
	;; [unrolled: 1-line block ×4, first 2 shown]
	v_fma_f64 v[156:157], v[76:77], s[14:15], v[86:87]
	v_fma_f64 v[158:159], v[96:97], s[16:17], v[88:89]
	;; [unrolled: 1-line block ×4, first 2 shown]
	v_fma_f64 v[98:99], v[98:99], -0.5, v[116:117]
	v_fma_f64 v[112:113], v[112:113], -0.5, v[116:117]
	v_add_f64 v[116:117], v[120:121], v[40:41]
	v_fma_f64 v[120:121], v[124:125], -0.5, v[118:119]
	v_fma_f64 v[118:119], v[126:127], -0.5, v[118:119]
	v_fma_f64 v[78:79], v[90:91], s[16:17], v[78:79]
	v_fma_f64 v[82:83], v[84:85], s[14:15], v[82:83]
	v_add_f64 v[124:125], v[128:129], v[130:131]
	v_add_f64 v[126:127], v[132:133], v[146:147]
	v_add_f64 v[132:133], v[20:21], -v[102:103]
	v_fma_f64 v[128:129], v[76:77], s[8:9], v[148:149]
	v_fma_f64 v[130:131], v[96:97], s[0:1], v[150:151]
	v_add_f64 v[146:147], v[22:23], -v[100:101]
	v_add_f64 v[114:115], v[114:115], v[42:43]
	v_add_f64 v[44:45], v[46:47], v[44:45]
	;; [unrolled: 1-line block ×5, first 2 shown]
	v_fma_f64 v[52:53], v[84:85], s[8:9], v[156:157]
	v_fma_f64 v[54:55], v[90:91], s[0:1], v[158:159]
	v_add_f64 v[148:149], v[40:41], -v[60:61]
	v_add_f64 v[150:151], v[42:43], -v[64:65]
	v_fma_f64 v[88:89], v[90:91], s[8:9], v[88:89]
	v_fma_f64 v[84:85], v[84:85], s[0:1], v[86:87]
	v_add_f64 v[86:87], v[22:23], -v[42:43]
	v_add_f64 v[90:91], v[100:101], -v[64:65]
	v_add_f64 v[116:117], v[116:117], v[60:61]
	v_fma_f64 v[78:79], v[96:97], s[8:9], v[78:79]
	v_fma_f64 v[76:77], v[76:77], s[0:1], v[82:83]
	v_add_f64 v[82:83], v[20:21], -v[40:41]
	v_add_f64 v[96:97], v[102:103], -v[60:61]
	v_fma_f64 v[152:153], v[132:133], s[14:15], v[98:99]
	v_fma_f64 v[128:129], v[126:127], s[18:19], v[128:129]
	;; [unrolled: 1-line block ×4, first 2 shown]
	v_add_f64 v[114:115], v[114:115], v[64:65]
	v_add_f64 v[22:23], v[42:43], -v[22:23]
	v_add_f64 v[42:43], v[64:65], -v[100:101]
	;; [unrolled: 1-line block ×4, first 2 shown]
	v_fma_f64 v[52:53], v[50:51], s[18:19], v[52:53]
	v_fma_f64 v[54:55], v[48:49], s[18:19], v[54:55]
	v_fma_f64 v[60:61], v[148:149], s[16:17], v[112:113]
	v_fma_f64 v[64:65], v[150:151], s[14:15], v[118:119]
	v_fma_f64 v[112:113], v[148:149], s[14:15], v[112:113]
	v_fma_f64 v[118:119], v[150:151], s[16:17], v[118:119]
	v_fma_f64 v[48:49], v[48:49], s[18:19], v[88:89]
	v_fma_f64 v[50:51], v[50:51], s[18:19], v[84:85]
	v_add_f64 v[44:45], v[44:45], v[56:57]
	v_add_f64 v[46:47], v[46:47], v[58:59]
	;; [unrolled: 1-line block ×3, first 2 shown]
	v_fma_f64 v[84:85], v[132:133], s[16:17], v[98:99]
	v_add_f64 v[58:59], v[82:83], v[96:97]
	v_fma_f64 v[90:91], v[148:149], s[0:1], v[152:153]
	v_mul_f64 v[82:83], v[128:129], s[0:1]
	v_mul_f64 v[86:87], v[130:131], s[8:9]
	v_fma_f64 v[96:97], v[150:151], s[8:9], v[154:155]
	v_fma_f64 v[88:89], v[146:147], s[14:15], v[120:121]
	;; [unrolled: 1-line block ×3, first 2 shown]
	v_add_f64 v[22:23], v[22:23], v[42:43]
	v_fma_f64 v[98:99], v[126:127], s[18:19], v[76:77]
	v_add_f64 v[20:21], v[20:21], v[40:41]
	v_mul_f64 v[40:41], v[52:53], s[14:15]
	v_mul_f64 v[42:43], v[54:55], s[16:17]
	v_fma_f64 v[60:61], v[132:133], s[0:1], v[60:61]
	v_fma_f64 v[64:65], v[146:147], s[8:9], v[64:65]
	v_fma_f64 v[112:113], v[132:133], s[8:9], v[112:113]
	v_fma_f64 v[118:119], v[146:147], s[0:1], v[118:119]
	v_mul_f64 v[120:121], v[48:49], s[18:19]
	v_mul_f64 v[124:125], v[50:51], s[18:19]
	v_fma_f64 v[80:81], v[80:81], s[8:9], -v[74:75]
	v_add_f64 v[100:101], v[114:115], v[100:101]
	v_add_f64 v[102:103], v[116:117], v[102:103]
	;; [unrolled: 1-line block ×4, first 2 shown]
	v_fma_f64 v[90:91], v[56:57], s[18:19], v[90:91]
	v_fma_f64 v[82:83], v[130:131], s[20:21], v[82:83]
	;; [unrolled: 1-line block ×4, first 2 shown]
	v_add_f64 v[72:73], v[108:109], v[110:111]
	v_fma_f64 v[84:85], v[148:149], s[8:9], v[84:85]
	v_fma_f64 v[88:89], v[150:151], s[0:1], v[88:89]
	v_mul_f64 v[126:127], v[78:79], s[20:21]
	v_mul_f64 v[132:133], v[98:99], s[20:21]
	v_fma_f64 v[54:55], v[54:55], s[18:19], v[40:41]
	v_fma_f64 v[104:105], v[52:53], s[18:19], v[42:43]
	;; [unrolled: 1-line block ×6, first 2 shown]
	v_fma_f64 v[114:115], v[50:51], s[14:15], -v[120:121]
	v_fma_f64 v[116:117], v[48:49], s[16:17], -v[124:125]
	v_add_f64 v[74:75], v[122:123], v[92:93]
	v_add_f64 v[76:77], v[94:95], v[80:81]
	v_add3_u32 v146, 0, v160, v161
	ds_write_b128 v146, v[0:3]
	ds_write_b128 v146, v[8:11] offset:480
	ds_write_b128 v146, v[16:19] offset:960
	;; [unrolled: 1-line block ×5, first 2 shown]
	v_add_f64 v[0:1], v[100:101], v[44:45]
	v_add_f64 v[2:3], v[102:103], v[46:47]
	v_add_f64 v[64:65], v[108:109], -v[110:111]
	v_add_f64 v[8:9], v[90:91], v[82:83]
	v_add_f64 v[10:11], v[96:97], v[86:87]
	v_add_f64 v[20:21], v[122:123], -v[92:93]
	v_add_f64 v[22:23], v[94:95], -v[80:81]
	v_add_f64 v[40:41], v[52:53], v[54:55]
	v_add_f64 v[42:43], v[60:61], v[104:105]
	v_fma_f64 v[56:57], v[56:57], s[18:19], v[84:85]
	v_fma_f64 v[58:59], v[58:59], s[18:19], v[88:89]
	v_fma_f64 v[84:85], v[98:99], s[0:1], -v[126:127]
	v_fma_f64 v[78:79], v[78:79], s[8:9], -v[132:133]
	v_add_f64 v[4:5], v[100:101], -v[44:45]
	v_add_f64 v[6:7], v[102:103], -v[46:47]
	v_add_f64 v[44:45], v[106:107], v[114:115]
	v_add_f64 v[46:47], v[112:113], v[116:117]
	ds_write_b128 v146, v[12:15] offset:2880
	v_mul_u32_u24_e32 v12, 0x12c0, v134
	v_lshlrev_b32_sdwa v13, v145, v135 dst_sel:DWORD dst_unused:UNUSED_PAD src0_sel:DWORD src1_sel:WORD_0
	ds_write_b128 v146, v[66:69] offset:3360
	ds_write_b128 v146, v[62:65] offset:3840
	ds_write_b128 v146, v[20:23] offset:4320
	v_add3_u32 v14, 0, v12, v13
	v_lshlrev_b32_e32 v12, 1, v24
	v_mov_b32_e32 v13, 0
	ds_write_b128 v14, v[0:3]
	ds_write_b128 v14, v[8:11] offset:480
	ds_write_b128 v14, v[40:43] offset:960
	;; [unrolled: 1-line block ×3, first 2 shown]
	v_lshlrev_b64 v[0:1], 4, v[12:13]
	v_add_f64 v[48:49], v[56:57], v[84:85]
	v_add_f64 v[50:51], v[58:59], v[78:79]
	v_add_f64 v[16:17], v[90:91], -v[82:83]
	v_add_f64 v[18:19], v[96:97], -v[86:87]
	;; [unrolled: 1-line block ×5, first 2 shown]
	v_add_co_u32 v58, s0, s12, v0
	v_add_co_ci_u32_e64 v59, s0, s13, v1, s0
	v_lshlrev_b32_e32 v0, 1, v28
	v_mov_b32_e32 v1, v13
	v_add_f64 v[20:21], v[56:57], -v[84:85]
	v_add_co_u32 v2, s0, 0x1000, v58
	v_add_co_ci_u32_e64 v3, s0, 0, v59, s0
	v_lshlrev_b64 v[0:1], 4, v[0:1]
	v_add_f64 v[70:71], v[106:107], -v[114:115]
	v_add_f64 v[72:73], v[112:113], -v[116:117]
	ds_write_b128 v14, v[48:51] offset:1920
	ds_write_b128 v14, v[4:7] offset:2400
	;; [unrolled: 1-line block ×4, first 2 shown]
	v_add_co_u32 v60, s0, s12, v0
	v_add_co_ci_u32_e64 v61, s0, s13, v1, s0
	v_add_co_u32 v0, s0, 0x1290, v58
	v_add_co_ci_u32_e64 v1, s0, 0, v59, s0
	;; [unrolled: 2-line block ×3, first 2 shown]
	v_add_co_u32 v18, s0, 0x1290, v60
	v_lshlrev_b32_e32 v6, 1, v39
	v_mov_b32_e32 v7, v13
	v_add_co_ci_u32_e64 v19, s0, 0, v61, s0
	ds_write_b128 v14, v[20:23] offset:4320
	v_subrev_nc_u32_e32 v22, 30, v24
	v_cmp_gt_u32_e64 s0, 30, v24
	v_lshlrev_b64 v[20:21], 4, v[6:7]
	ds_write_b128 v14, v[70:73] offset:3840
	s_waitcnt lgkmcnt(0)
	s_barrier
	v_cndmask_b32_e64 v64, v22, v38, s0
	buffer_gl0_inv
	s_clause 0x3
	global_load_dwordx4 v[14:17], v[2:3], off offset:656
	global_load_dwordx4 v[8:11], v[0:1], off offset:16
	;; [unrolled: 1-line block ×4, first 2 shown]
	v_add_co_u32 v62, s0, s12, v20
	v_lshlrev_b32_e32 v18, 1, v64
	v_mov_b32_e32 v19, v13
	v_add_co_ci_u32_e64 v63, s0, s13, v21, s0
	v_add_co_u32 v20, s0, 0x1000, v62
	v_lshlrev_b64 v[18:19], 4, v[18:19]
	v_add_co_ci_u32_e64 v21, s0, 0, v63, s0
	v_add_co_u32 v22, s0, 0x1290, v62
	v_add_co_ci_u32_e64 v23, s0, 0, v63, s0
	v_add_co_u32 v40, s0, s12, v18
	v_add_co_ci_u32_e64 v41, s0, s13, v19, s0
	v_add_nc_u32_e32 v18, 0x78, v12
	v_mov_b32_e32 v19, v13
	v_add_co_u32 v44, s0, 0x1000, v40
	v_add_co_ci_u32_e64 v45, s0, 0, v41, s0
	v_lshlrev_b64 v[52:53], 4, v[18:19]
	v_add_co_u32 v48, s0, 0x1290, v40
	v_add_nc_u32_e32 v12, 0x12c, v12
	v_lshrrev_b16 v56, 2, v35
	v_mov_b32_e32 v68, 0x6d3b
	v_add_co_ci_u32_e64 v49, s0, 0, v41, s0
	v_add_co_u32 v54, s0, s12, v52
	v_add_co_ci_u32_e64 v55, s0, s13, v53, s0
	v_lshlrev_b64 v[52:53], 4, v[12:13]
	v_mul_u32_u24_sdwa v12, v56, v68 dst_sel:DWORD dst_unused:UNUSED_PAD src0_sel:WORD_0 src1_sel:DWORD
	s_clause 0x3
	global_load_dwordx4 v[18:21], v[20:21], off offset:656
	global_load_dwordx4 v[40:43], v[22:23], off offset:16
	;; [unrolled: 1-line block ×4, first 2 shown]
	v_add_co_u32 v22, s0, 0x1000, v54
	v_add_co_ci_u32_e64 v23, s0, 0, v55, s0
	v_add_co_u32 v56, s0, 0x1290, v54
	v_lshrrev_b32_e32 v12, 21, v12
	v_lshrrev_b16 v54, 2, v34
	v_add_co_ci_u32_e64 v57, s0, 0, v55, s0
	v_add_co_u32 v52, s0, s12, v52
	v_mul_lo_u16 v55, 0x12c, v12
	v_mul_u32_u24_sdwa v54, v54, v68 dst_sel:DWORD dst_unused:UNUSED_PAD src0_sel:WORD_0 src1_sel:DWORD
	v_add_co_ci_u32_e64 v53, s0, s13, v53, s0
	v_add_co_u32 v66, s0, 0x1000, v52
	v_sub_nc_u16 v65, v35, v55
	v_mov_b32_e32 v73, 5
	v_lshrrev_b32_e32 v54, 21, v54
	v_add_co_ci_u32_e64 v67, s0, 0, v53, s0
	v_add_co_u32 v77, s0, 0x1290, v52
	v_add_co_ci_u32_e64 v78, s0, 0, v53, s0
	v_mul_lo_u16 v81, 0x12c, v54
	s_clause 0x1
	global_load_dwordx4 v[52:55], v[22:23], off offset:656
	global_load_dwordx4 v[69:72], v[56:57], off offset:16
	v_lshlrev_b32_sdwa v22, v73, v65 dst_sel:DWORD dst_unused:UNUSED_PAD src0_sel:DWORD src1_sel:WORD_0
	v_lshrrev_b16 v56, 2, v33
	s_clause 0x1
	global_load_dwordx4 v[73:76], v[66:67], off offset:656
	global_load_dwordx4 v[77:80], v[77:78], off offset:16
	v_sub_nc_u16 v23, v34, v81
	v_lshlrev_b32_e32 v64, 4, v64
	v_add_co_u32 v57, s0, s12, v22
	v_mul_u32_u24_sdwa v56, v56, v68 dst_sel:DWORD dst_unused:UNUSED_PAD src0_sel:WORD_0 src1_sel:DWORD
	v_add_co_ci_u32_e64 v67, null, s13, 0, s0
	v_add_co_u32 v22, s0, 0x1000, v57
	v_lshrrev_b32_e32 v82, 21, v56
	v_and_b32_e32 v66, 0xffff, v23
	v_add_co_ci_u32_e64 v23, s0, 0, v67, s0
	v_add_co_u32 v56, s0, 0x1290, v57
	v_add_co_ci_u32_e64 v57, s0, 0, v67, s0
	v_mul_lo_u16 v67, 0x12c, v82
	v_lshrrev_b16 v82, 2, v32
	v_lshlrev_b32_e32 v81, 5, v66
	v_mul_u32_u24_e32 v12, 0x3840, v12
	s_add_u32 s1, s12, 0xa890
	v_sub_nc_u16 v67, v33, v67
	v_mul_u32_u24_sdwa v68, v82, v68 dst_sel:DWORD dst_unused:UNUSED_PAD src0_sel:WORD_0 src1_sel:DWORD
	v_add_co_u32 v81, s0, s12, v81
	v_add_co_ci_u32_e64 v83, null, s13, 0, s0
	v_lshrrev_b32_e32 v68, 21, v68
	v_add_co_u32 v89, s0, 0x1000, v81
	v_and_b32_e32 v67, 0xffff, v67
	v_add_co_ci_u32_e64 v90, s0, 0, v83, s0
	v_mul_lo_u16 v68, 0x12c, v68
	v_add_co_u32 v93, s0, 0x1290, v81
	v_add_co_ci_u32_e64 v94, s0, 0, v83, s0
	s_clause 0x1
	global_load_dwordx4 v[81:84], v[22:23], off offset:656
	global_load_dwordx4 v[85:88], v[56:57], off offset:16
	v_lshlrev_b32_e32 v22, 5, v67
	v_sub_nc_u16 v23, v32, v68
	s_clause 0x1
	global_load_dwordx4 v[89:92], v[89:90], off offset:656
	global_load_dwordx4 v[93:96], v[93:94], off offset:16
	v_add_co_u32 v56, s0, s12, v22
	v_and_b32_e32 v68, 0xffff, v23
	v_add_co_ci_u32_e64 v57, null, s13, 0, s0
	v_add_co_u32 v22, s0, 0x1000, v56
	v_lshlrev_b32_e32 v97, 5, v68
	v_add_co_ci_u32_e64 v23, s0, 0, v57, s0
	v_add_co_u32 v56, s0, 0x1290, v56
	v_add_co_ci_u32_e64 v57, s0, 0, v57, s0
	v_add_co_u32 v105, s0, s12, v97
	v_add_co_ci_u32_e64 v106, null, s13, 0, s0
	s_clause 0x1
	global_load_dwordx4 v[97:100], v[22:23], off offset:656
	global_load_dwordx4 v[101:104], v[56:57], off offset:16
	v_add_co_u32 v22, s0, 0x1000, v105
	v_add_co_ci_u32_e64 v23, s0, 0, v106, s0
	v_add_co_u32 v56, s0, 0x1290, v105
	v_add_co_ci_u32_e64 v57, s0, 0, v106, s0
	s_clause 0x1
	global_load_dwordx4 v[105:108], v[22:23], off offset:656
	global_load_dwordx4 v[109:112], v[56:57], off offset:16
	ds_read_b128 v[113:116], v138 offset:14400
	ds_read_b128 v[117:120], v138 offset:28800
	;; [unrolled: 1-line block ×9, first 2 shown]
	v_cmp_lt_u32_e64 s0, 29, v24
	s_waitcnt vmcnt(19) lgkmcnt(8)
	v_mul_f64 v[22:23], v[115:116], v[16:17]
	v_mul_f64 v[16:17], v[113:114], v[16:17]
	s_waitcnt vmcnt(18) lgkmcnt(7)
	v_mul_f64 v[56:57], v[119:120], v[10:11]
	v_mul_f64 v[10:11], v[117:118], v[10:11]
	;; [unrolled: 3-line block ×3, first 2 shown]
	v_mul_f64 v[133:134], v[123:124], v[6:7]
	v_mul_f64 v[162:163], v[121:122], v[6:7]
	v_fma_f64 v[170:171], v[113:114], v[14:15], -v[22:23]
	v_fma_f64 v[172:173], v[115:116], v[14:15], v[16:17]
	ds_read_b128 v[14:17], v138 offset:34560
	ds_read_b128 v[113:116], v141
	v_fma_f64 v[176:177], v[119:120], v[8:9], v[10:11]
	v_fma_f64 v[164:165], v[125:126], v[0:1], -v[164:165]
	v_fma_f64 v[174:175], v[117:118], v[8:9], -v[56:57]
	ds_read_b128 v[6:9], v138 offset:21600
	ds_read_b128 v[117:120], v138 offset:23040
	v_fma_f64 v[166:167], v[127:128], v[0:1], v[166:167]
	v_fma_f64 v[133:134], v[121:122], v[4:5], -v[133:134]
	v_fma_f64 v[162:163], v[123:124], v[4:5], v[162:163]
	ds_read_b128 v[2:5], v138 offset:36000
	ds_read_b128 v[121:124], v138 offset:38880
	s_waitcnt vmcnt(15) lgkmcnt(10)
	v_mul_f64 v[168:169], v[131:132], v[20:21]
	v_mul_f64 v[20:21], v[129:130], v[20:21]
	s_waitcnt vmcnt(14) lgkmcnt(9)
	v_mul_f64 v[22:23], v[148:149], v[42:43]
	v_mul_f64 v[42:43], v[146:147], v[42:43]
	;; [unrolled: 3-line block ×4, first 2 shown]
	v_fma_f64 v[129:130], v[129:130], v[18:19], -v[168:169]
	v_fma_f64 v[131:132], v[131:132], v[18:19], v[20:21]
	ds_read_b128 v[18:21], v138 offset:37440
	v_fma_f64 v[146:147], v[146:147], v[40:41], -v[22:23]
	v_fma_f64 v[148:149], v[148:149], v[40:41], v[42:43]
	v_fma_f64 v[152:153], v[152:153], v[44:45], v[46:47]
	v_fma_f64 v[154:155], v[154:155], v[48:49], -v[125:126]
	v_fma_f64 v[156:157], v[156:157], v[48:49], v[50:51]
	ds_read_b128 v[46:49], v138 offset:25920
	s_waitcnt vmcnt(11) lgkmcnt(8)
	v_mul_f64 v[0:1], v[160:161], v[54:55]
	v_mul_f64 v[127:128], v[158:159], v[54:55]
	s_waitcnt vmcnt(10) lgkmcnt(7)
	v_mul_f64 v[168:169], v[16:17], v[71:72]
	v_mul_f64 v[71:72], v[14:15], v[71:72]
	s_waitcnt vmcnt(9) lgkmcnt(5)
	v_mul_f64 v[22:23], v[8:9], v[75:76]
	ds_read_b128 v[54:57], v138 offset:24480
	v_mul_f64 v[40:41], v[6:7], v[75:76]
	v_fma_f64 v[150:151], v[150:151], v[44:45], -v[10:11]
	s_waitcnt vmcnt(8) lgkmcnt(4)
	v_mul_f64 v[10:11], v[4:5], v[79:80]
	v_mul_f64 v[42:43], v[2:3], v[79:80]
	v_fma_f64 v[158:159], v[158:159], v[52:53], -v[0:1]
	v_fma_f64 v[160:161], v[160:161], v[52:53], v[127:128]
	ds_read_b128 v[50:53], v138 offset:40320
	v_fma_f64 v[44:45], v[14:15], v[69:70], -v[168:169]
	v_fma_f64 v[168:169], v[16:17], v[69:70], v[71:72]
	ds_read_b128 v[69:72], v138 offset:27360
	ds_read_b128 v[125:128], v138 offset:41760
	v_fma_f64 v[178:179], v[6:7], v[73:74], -v[22:23]
	v_fma_f64 v[180:181], v[8:9], v[73:74], v[40:41]
	ds_read_b128 v[73:76], v138
	v_fma_f64 v[22:23], v[2:3], v[77:78], -v[10:11]
	v_fma_f64 v[40:41], v[4:5], v[77:78], v[42:43]
	s_waitcnt vmcnt(7)
	v_mul_f64 v[79:80], v[119:120], v[83:84]
	v_mul_f64 v[0:1], v[117:118], v[83:84]
	s_waitcnt vmcnt(6) lgkmcnt(6)
	v_mul_f64 v[14:15], v[20:21], v[87:88]
	v_mul_f64 v[16:17], v[18:19], v[87:88]
	s_waitcnt vmcnt(5) lgkmcnt(4)
	v_mul_f64 v[83:84], v[56:57], v[91:92]
	v_mul_f64 v[87:88], v[54:55], v[91:92]
	s_waitcnt vmcnt(4)
	v_mul_f64 v[2:3], v[123:124], v[95:96]
	v_mul_f64 v[42:43], v[121:122], v[95:96]
	v_fma_f64 v[4:5], v[117:118], v[81:82], -v[79:80]
	v_fma_f64 v[182:183], v[119:120], v[81:82], v[0:1]
	s_waitcnt vmcnt(3)
	v_mul_f64 v[91:92], v[46:47], v[99:100]
	v_mul_f64 v[77:78], v[48:49], v[99:100]
	s_waitcnt vmcnt(2) lgkmcnt(3)
	v_mul_f64 v[81:82], v[50:51], v[103:104]
	v_mul_f64 v[79:80], v[52:53], v[103:104]
	v_fma_f64 v[8:9], v[18:19], v[85:86], -v[14:15]
	v_fma_f64 v[14:15], v[20:21], v[85:86], v[16:17]
	v_fma_f64 v[6:7], v[54:55], v[89:90], -v[83:84]
	v_add_f64 v[83:84], v[172:173], v[176:177]
	v_fma_f64 v[10:11], v[56:57], v[89:90], v[87:88]
	s_waitcnt lgkmcnt(0)
	v_add_f64 v[87:88], v[75:76], v[172:173]
	ds_read_b128 v[54:57], v137
	s_waitcnt vmcnt(1)
	v_mul_f64 v[95:96], v[71:72], v[107:108]
	v_mul_f64 v[99:100], v[69:70], v[107:108]
	s_waitcnt vmcnt(0)
	v_mul_f64 v[85:86], v[127:128], v[111:112]
	v_add_f64 v[107:108], v[170:171], v[174:175]
	v_add_f64 v[89:90], v[133:134], v[164:165]
	v_mul_f64 v[103:104], v[125:126], v[111:112]
	v_fma_f64 v[0:1], v[121:122], v[93:94], -v[2:3]
	v_fma_f64 v[2:3], v[123:124], v[93:94], v[42:43]
	v_add_f64 v[93:94], v[129:130], v[146:147]
	v_add_f64 v[117:118], v[115:116], v[152:153]
	v_add_f64 v[119:120], v[152:153], -v[156:157]
	v_fma_f64 v[20:21], v[48:49], v[97:98], v[91:92]
	v_add_f64 v[91:92], v[162:163], v[166:167]
	v_fma_f64 v[18:19], v[46:47], v[97:98], -v[77:78]
	v_fma_f64 v[42:43], v[52:53], v[101:102], v[81:82]
	v_add_f64 v[81:82], v[150:151], v[154:155]
	v_fma_f64 v[16:17], v[50:51], v[101:102], -v[79:80]
	ds_read_b128 v[77:80], v136
	v_fma_f64 v[83:84], v[83:84], -0.5, v[75:76]
	v_add_f64 v[75:76], v[172:173], -v[176:177]
	s_waitcnt lgkmcnt(1)
	v_add_f64 v[97:98], v[56:57], v[162:163]
	v_add_f64 v[121:122], v[150:151], -v[154:155]
	v_fma_f64 v[46:47], v[69:70], v[105:106], -v[95:96]
	v_add_f64 v[69:70], v[131:132], v[148:149]
	v_add_f64 v[95:96], v[152:153], v[156:157]
	v_fma_f64 v[50:51], v[125:126], v[109:110], -v[85:86]
	v_fma_f64 v[85:86], v[107:108], -0.5, v[73:74]
	v_add_f64 v[73:74], v[73:74], v[170:171]
	v_fma_f64 v[48:49], v[71:72], v[105:106], v[99:100]
	v_add_f64 v[71:72], v[87:88], v[176:177]
	v_add_f64 v[87:88], v[170:171], -v[174:175]
	v_fma_f64 v[89:90], v[89:90], -0.5, v[54:55]
	v_add_f64 v[54:55], v[54:55], v[133:134]
	v_add_f64 v[99:100], v[162:163], -v[166:167]
	v_fma_f64 v[56:57], v[91:92], -0.5, v[56:57]
	v_add_f64 v[91:92], v[133:134], -v[164:165]
	v_fma_f64 v[52:53], v[127:128], v[109:110], v[103:104]
	s_waitcnt lgkmcnt(0)
	v_fma_f64 v[101:102], v[93:94], -0.5, v[77:78]
	v_add_f64 v[93:94], v[79:80], v[131:132]
	v_add_f64 v[103:104], v[77:78], v[129:130]
	v_add_f64 v[105:106], v[131:132], -v[148:149]
	v_add_f64 v[109:110], v[129:130], -v[146:147]
	v_fma_f64 v[111:112], v[81:82], -0.5, v[113:114]
	v_add_f64 v[113:114], v[113:114], v[150:151]
	v_add_f64 v[133:134], v[158:159], v[44:45]
	v_fma_f64 v[107:108], v[69:70], -0.5, v[79:80]
	v_fma_f64 v[115:116], v[95:96], -0.5, v[115:116]
	v_fma_f64 v[77:78], v[75:76], s[6:7], v[85:86]
	v_add_f64 v[69:70], v[73:74], v[174:175]
	v_fma_f64 v[73:74], v[75:76], s[4:5], v[85:86]
	v_fma_f64 v[75:76], v[87:88], s[6:7], v[83:84]
	v_fma_f64 v[79:80], v[87:88], s[4:5], v[83:84]
	v_add_f64 v[83:84], v[97:98], v[166:167]
	v_add_f64 v[81:82], v[54:55], v[164:165]
	v_fma_f64 v[85:86], v[99:100], s[4:5], v[89:90]
	v_fma_f64 v[87:88], v[91:92], s[6:7], v[56:57]
	;; [unrolled: 1-line block ×3, first 2 shown]
	v_lshl_add_u32 v57, v37, 4, 0
	v_fma_f64 v[89:90], v[99:100], s[6:7], v[89:90]
	v_add_f64 v[95:96], v[93:94], v[148:149]
	v_add_f64 v[93:94], v[103:104], v[146:147]
	v_fma_f64 v[97:98], v[105:106], s[4:5], v[101:102]
	v_fma_f64 v[101:102], v[105:106], s[6:7], v[101:102]
	v_add_f64 v[105:106], v[113:114], v[154:155]
	v_fma_f64 v[113:114], v[119:120], s[6:7], v[111:112]
	v_fma_f64 v[99:100], v[109:110], s[6:7], v[107:108]
	;; [unrolled: 1-line block ×3, first 2 shown]
	v_add_f64 v[107:108], v[117:118], v[156:157]
	v_fma_f64 v[109:110], v[119:120], s[4:5], v[111:112]
	v_lshl_add_u32 v56, v36, 4, 0
	ds_read_b128 v[117:120], v57
	v_lshl_add_u32 v55, v34, 4, 0
	v_add_f64 v[154:155], v[160:161], v[168:169]
	v_lshl_add_u32 v54, v33, 4, 0
	v_fma_f64 v[111:112], v[121:122], s[6:7], v[115:116]
	v_fma_f64 v[115:116], v[121:122], s[4:5], v[115:116]
	ds_read_b128 v[121:124], v56
	ds_read_b128 v[125:128], v55
	;; [unrolled: 1-line block ×5, first 2 shown]
	s_waitcnt lgkmcnt(0)
	s_barrier
	buffer_gl0_inv
	ds_write_b128 v138, v[69:72]
	v_add_f64 v[69:70], v[178:179], v[22:23]
	v_add_f64 v[71:72], v[180:181], v[40:41]
	ds_write_b128 v138, v[73:76] offset:4800
	ds_write_b128 v138, v[77:80] offset:9600
	ds_write_b128 v137, v[81:84]
	ds_write_b128 v137, v[85:88] offset:4800
	v_cndmask_b32_e64 v77, 0, 0x3840, s0
	ds_write_b128 v137, v[89:92] offset:9600
	v_add_f64 v[75:76], v[4:5], v[8:9]
	v_add_f64 v[81:82], v[160:161], -v[168:169]
	v_add_f64 v[85:86], v[158:159], -v[44:45]
	v_add_f64 v[79:80], v[117:118], v[158:159]
	v_add_f64 v[73:74], v[119:120], v[160:161]
	v_add3_u32 v64, 0, v77, v64
	v_fma_f64 v[77:78], v[133:134], -0.5, v[117:118]
	v_fma_f64 v[83:84], v[154:155], -0.5, v[119:120]
	v_add_f64 v[89:90], v[123:124], v[180:181]
	v_add_f64 v[91:92], v[121:122], v[178:179]
	ds_write_b128 v136, v[93:96]
	ds_write_b128 v136, v[97:100] offset:4800
	ds_write_b128 v136, v[101:104] offset:9600
	ds_write_b128 v64, v[105:108]
	v_add_f64 v[93:94], v[180:181], -v[40:41]
	ds_write_b128 v64, v[109:112] offset:4800
	ds_write_b128 v64, v[113:116] offset:9600
	v_add_f64 v[97:98], v[178:179], -v[22:23]
	v_add_f64 v[99:100], v[182:183], v[14:15]
	v_add_f64 v[101:102], v[148:149], v[182:183]
	v_fma_f64 v[87:88], v[69:70], -0.5, v[121:122]
	v_fma_f64 v[95:96], v[71:72], -0.5, v[123:124]
	v_add_f64 v[105:106], v[146:147], v[4:5]
	v_add_f64 v[109:110], v[6:7], v[0:1]
	v_add_f64 v[111:112], v[10:11], v[2:3]
	v_add_f64 v[113:114], v[20:21], v[42:43]
	v_fma_f64 v[103:104], v[75:76], -0.5, v[146:147]
	v_add_f64 v[107:108], v[182:183], -v[14:15]
	v_add_f64 v[69:70], v[79:80], v[44:45]
	v_add_f64 v[44:45], v[18:19], v[16:17]
	;; [unrolled: 1-line block ×3, first 2 shown]
	v_fma_f64 v[73:74], v[81:82], s[4:5], v[77:78]
	v_fma_f64 v[77:78], v[81:82], s[6:7], v[77:78]
	;; [unrolled: 1-line block ×4, first 2 shown]
	v_add_f64 v[83:84], v[89:90], v[40:41]
	v_add_f64 v[81:82], v[91:92], v[22:23]
	;; [unrolled: 1-line block ×4, first 2 shown]
	v_add_f64 v[115:116], v[6:7], -v[0:1]
	v_add_f64 v[119:120], v[131:132], v[20:21]
	v_add_f64 v[121:122], v[129:130], v[18:19]
	v_fma_f64 v[85:86], v[93:94], s[4:5], v[87:88]
	v_fma_f64 v[89:90], v[93:94], s[6:7], v[87:88]
	;; [unrolled: 1-line block ×4, first 2 shown]
	v_fma_f64 v[97:98], v[99:100], -0.5, v[148:149]
	v_add_f64 v[95:96], v[101:102], v[14:15]
	v_add_f64 v[14:15], v[4:5], -v[8:9]
	v_add_f64 v[93:94], v[105:106], v[8:9]
	v_fma_f64 v[99:100], v[109:110], -0.5, v[125:126]
	v_add_f64 v[105:106], v[127:128], v[10:11]
	v_add_f64 v[109:110], v[125:126], v[6:7]
	v_fma_f64 v[101:102], v[111:112], -0.5, v[127:128]
	v_add_f64 v[111:112], v[10:11], -v[2:3]
	v_fma_f64 v[117:118], v[44:45], -0.5, v[129:130]
	v_fma_f64 v[113:114], v[113:114], -0.5, v[131:132]
	v_add_f64 v[123:124], v[20:21], -v[42:43]
	v_add_f64 v[125:126], v[18:19], -v[16:17]
	v_add_f64 v[129:130], v[150:151], v[46:47]
	v_add_f64 v[131:132], v[152:153], v[48:49]
	v_fma_f64 v[22:23], v[22:23], -0.5, v[150:151]
	v_fma_f64 v[127:128], v[40:41], -0.5, v[152:153]
	v_add_f64 v[133:134], v[48:49], -v[52:53]
	v_add_f64 v[146:147], v[46:47], -v[50:51]
	v_fma_f64 v[4:5], v[107:108], s[4:5], v[103:104]
	v_fma_f64 v[8:9], v[107:108], s[6:7], v[103:104]
	v_add_f64 v[42:43], v[119:120], v[42:43]
	v_add_f64 v[40:41], v[121:122], v[16:17]
	ds_write_b128 v138, v[69:72] offset:15360
	v_fma_f64 v[6:7], v[14:15], s[6:7], v[97:98]
	v_fma_f64 v[10:11], v[14:15], s[4:5], v[97:98]
	v_lshlrev_b32_sdwa v64, v145, v65 dst_sel:DWORD dst_unused:UNUSED_PAD src0_sel:DWORD src1_sel:WORD_0
	v_add_f64 v[2:3], v[105:106], v[2:3]
	v_add_f64 v[0:1], v[109:110], v[0:1]
	v_fma_f64 v[20:21], v[115:116], s[6:7], v[101:102]
	v_fma_f64 v[18:19], v[111:112], s[4:5], v[99:100]
	;; [unrolled: 1-line block ×8, first 2 shown]
	v_add_f64 v[48:49], v[129:130], v[50:51]
	v_add_f64 v[50:51], v[131:132], v[52:53]
	v_fma_f64 v[97:98], v[133:134], s[4:5], v[22:23]
	v_fma_f64 v[99:100], v[146:147], s[6:7], v[127:128]
	ds_write_b128 v138, v[73:76] offset:20160
	ds_write_b128 v138, v[77:80] offset:24960
	v_fma_f64 v[73:74], v[133:134], s[6:7], v[22:23]
	v_fma_f64 v[75:76], v[146:147], s[4:5], v[127:128]
	v_add3_u32 v12, 0, v12, v64
	v_lshl_add_u32 v22, v66, 4, 0
	ds_write_b128 v138, v[81:84] offset:16800
	ds_write_b128 v138, v[85:88] offset:21600
	;; [unrolled: 1-line block ×3, first 2 shown]
	ds_write_b128 v12, v[93:96]
	ds_write_b128 v12, v[4:7] offset:4800
	ds_write_b128 v12, v[8:11] offset:9600
	v_lshl_add_u32 v4, v67, 4, 0
	ds_write_b128 v22, v[0:3] offset:28800
	ds_write_b128 v22, v[18:21] offset:33600
	v_add_co_u32 v0, s0, 0x3800, v58
	v_lshl_add_u32 v2, v68, 4, 0
	v_add_co_ci_u32_e64 v1, s0, 0, v59, s0
	ds_write_b128 v22, v[44:47] offset:38400
	ds_write_b128 v4, v[40:43] offset:28800
	;; [unrolled: 1-line block ×6, first 2 shown]
	v_add_co_u32 v4, s0, 0x3810, v58
	v_add_co_ci_u32_e64 v5, s0, 0, v59, s0
	v_add_co_u32 v8, s0, 0x3800, v60
	v_lshlrev_b32_e32 v12, 1, v38
	v_add_co_ci_u32_e64 v9, s0, 0, v61, s0
	v_add_co_u32 v14, s0, 0x3810, v60
	v_add_co_ci_u32_e64 v15, s0, 0, v61, s0
	v_add_co_u32 v18, s0, 0x3800, v62
	v_lshlrev_b64 v[44:45], 4, v[12:13]
	ds_write_b128 v2, v[73:76] offset:38400
	s_waitcnt lgkmcnt(0)
	s_barrier
	buffer_gl0_inv
	s_clause 0x1
	global_load_dwordx4 v[0:3], v[0:1], off offset:16
	global_load_dwordx4 v[4:7], v[4:5], off offset:16
	v_add_co_ci_u32_e64 v19, s0, 0, v63, s0
	v_add_co_u32 v22, s0, 0x3810, v62
	v_lshlrev_b32_e32 v12, 1, v37
	v_add_co_ci_u32_e64 v23, s0, 0, v63, s0
	v_add_co_u32 v46, s0, s12, v44
	s_clause 0x3
	global_load_dwordx4 v[8:11], v[8:9], off offset:16
	global_load_dwordx4 v[14:17], v[14:15], off offset:16
	;; [unrolled: 1-line block ×4, first 2 shown]
	v_add_co_ci_u32_e64 v47, s0, s13, v45, s0
	v_lshlrev_b64 v[22:23], 4, v[12:13]
	v_add_co_u32 v44, s0, 0x3800, v46
	v_add_co_ci_u32_e64 v45, s0, 0, v47, s0
	v_lshlrev_b32_e32 v12, 1, v36
	v_add_co_u32 v48, s0, s12, v22
	v_add_co_ci_u32_e64 v49, s0, s13, v23, s0
	v_add_co_u32 v22, s0, 0x3810, v46
	v_add_co_ci_u32_e64 v23, s0, 0, v47, s0
	v_add_co_u32 v52, s0, 0x3800, v48
	v_lshlrev_b64 v[66:67], 4, v[12:13]
	v_add_co_ci_u32_e64 v53, s0, 0, v49, s0
	v_add_co_u32 v62, s0, 0x3810, v48
	v_lshlrev_b32_e32 v12, 1, v35
	v_add_co_ci_u32_e64 v63, s0, 0, v49, s0
	v_add_co_u32 v66, s0, s12, v66
	s_clause 0x3
	global_load_dwordx4 v[44:47], v[44:45], off offset:16
	global_load_dwordx4 v[48:51], v[22:23], off offset:16
	;; [unrolled: 1-line block ×4, first 2 shown]
	v_add_co_ci_u32_e64 v67, s0, s13, v67, s0
	v_lshlrev_b64 v[22:23], 4, v[12:13]
	v_add_co_u32 v52, s0, 0x3800, v66
	v_add_co_ci_u32_e64 v53, s0, 0, v67, s0
	v_lshlrev_b32_e32 v12, 1, v34
	v_add_co_u32 v68, s0, s12, v22
	v_add_co_ci_u32_e64 v69, s0, s13, v23, s0
	v_add_co_u32 v22, s0, 0x3810, v66
	v_add_co_ci_u32_e64 v23, s0, 0, v67, s0
	;; [unrolled: 2-line block ×4, first 2 shown]
	s_clause 0x3
	global_load_dwordx4 v[66:69], v[52:53], off offset:16
	global_load_dwordx4 v[70:73], v[22:23], off offset:16
	;; [unrolled: 1-line block ×4, first 2 shown]
	v_lshlrev_b64 v[82:83], 4, v[12:13]
	v_lshlrev_b32_e32 v12, 1, v33
	v_add_co_u32 v82, s0, s12, v82
	v_add_co_ci_u32_e64 v83, s0, s13, v83, s0
	v_lshlrev_b64 v[52:53], 4, v[12:13]
	v_add_co_u32 v22, s0, 0x3800, v82
	v_add_co_ci_u32_e64 v23, s0, 0, v83, s0
	v_add_co_u32 v86, s0, 0x3810, v82
	v_lshlrev_b32_e32 v12, 1, v32
	v_add_co_ci_u32_e64 v87, s0, 0, v83, s0
	global_load_dwordx4 v[82:85], v[22:23], off offset:16
	v_add_co_u32 v94, s0, s12, v52
	v_add_co_ci_u32_e64 v95, s0, s13, v53, s0
	v_lshlrev_b64 v[52:53], 4, v[12:13]
	v_add_co_u32 v22, s0, 0x3800, v94
	v_add_co_ci_u32_e64 v23, s0, 0, v95, s0
	s_clause 0x1
	global_load_dwordx4 v[86:89], v[86:87], off offset:16
	global_load_dwordx4 v[90:93], v[22:23], off offset:16
	v_add_co_u32 v12, s0, s12, v52
	v_add_co_ci_u32_e64 v102, s0, s13, v53, s0
	v_add_co_u32 v22, s0, 0x3810, v94
	v_add_co_ci_u32_e64 v23, s0, 0, v95, s0
	v_add_co_u32 v52, s0, 0x3800, v12
	v_add_co_ci_u32_e64 v53, s0, 0, v102, s0
	s_clause 0x1
	global_load_dwordx4 v[94:97], v[22:23], off offset:16
	global_load_dwordx4 v[98:101], v[52:53], off offset:16
	v_add_co_u32 v22, s0, 0x3810, v12
	v_add_co_ci_u32_e64 v23, s0, 0, v102, s0
	global_load_dwordx4 v[102:105], v[22:23], off offset:16
	ds_read_b128 v[106:109], v138 offset:14400
	ds_read_b128 v[110:113], v138 offset:28800
	;; [unrolled: 1-line block ×8, first 2 shown]
	s_waitcnt vmcnt(19) lgkmcnt(7)
	v_mul_f64 v[22:23], v[108:109], v[2:3]
	v_mul_f64 v[2:3], v[106:107], v[2:3]
	s_waitcnt vmcnt(18) lgkmcnt(6)
	v_mul_f64 v[52:53], v[112:113], v[6:7]
	v_mul_f64 v[6:7], v[110:111], v[6:7]
	;; [unrolled: 3-line block ×5, first 2 shown]
	s_waitcnt vmcnt(14) lgkmcnt(1)
	v_mul_f64 v[165:166], v[128:129], v[42:43]
	v_fma_f64 v[163:164], v[106:107], v[0:1], -v[22:23]
	v_fma_f64 v[167:168], v[108:109], v[0:1], v[2:3]
	v_mul_f64 v[0:1], v[126:127], v[42:43]
	ds_read_b128 v[20:23], v138 offset:20160
	ds_read_b128 v[149:152], v141
	ds_read_b128 v[106:109], v138 offset:34560
	v_fma_f64 v[169:170], v[110:111], v[4:5], -v[52:53]
	ds_read_b128 v[153:156], v138 offset:21600
	v_fma_f64 v[171:172], v[112:113], v[4:5], v[6:7]
	ds_read_b128 v[4:7], v138 offset:36000
	v_fma_f64 v[134:135], v[114:115], v[8:9], -v[134:135]
	v_fma_f64 v[173:174], v[116:117], v[8:9], v[10:11]
	ds_read_b128 v[114:117], v138 offset:24480
	v_fma_f64 v[157:158], v[118:119], v[14:15], -v[157:158]
	v_fma_f64 v[175:176], v[120:121], v[14:15], v[16:17]
	v_fma_f64 v[122:123], v[122:123], v[18:19], -v[159:160]
	s_waitcnt vmcnt(13) lgkmcnt(6)
	v_mul_f64 v[2:3], v[132:133], v[46:47]
	v_fma_f64 v[124:125], v[124:125], v[18:19], v[161:162]
	s_waitcnt vmcnt(12)
	v_mul_f64 v[10:11], v[145:146], v[50:51]
	v_mul_f64 v[42:43], v[130:131], v[46:47]
	ds_read_b128 v[110:113], v138 offset:23040
	v_mul_f64 v[8:9], v[147:148], v[50:51]
	ds_read_b128 v[50:53], v138 offset:37440
	ds_read_b128 v[118:121], v138 offset:38880
	s_waitcnt vmcnt(11) lgkmcnt(8)
	v_mul_f64 v[14:15], v[22:23], v[60:61]
	v_mul_f64 v[16:17], v[20:21], v[60:61]
	s_waitcnt vmcnt(10) lgkmcnt(6)
	v_mul_f64 v[18:19], v[108:109], v[64:65]
	v_mul_f64 v[60:61], v[106:107], v[64:65]
	v_fma_f64 v[128:129], v[128:129], v[40:41], v[0:1]
	v_fma_f64 v[126:127], v[126:127], v[40:41], -v[165:166]
	v_fma_f64 v[130:131], v[130:131], v[44:45], -v[2:3]
	v_fma_f64 v[147:148], v[147:148], v[48:49], v[10:11]
	s_waitcnt vmcnt(9) lgkmcnt(5)
	v_mul_f64 v[64:65], v[155:156], v[68:69]
	v_mul_f64 v[0:1], v[153:154], v[68:69]
	s_waitcnt vmcnt(8) lgkmcnt(4)
	v_mul_f64 v[68:69], v[4:5], v[72:73]
	v_mul_f64 v[40:41], v[6:7], v[72:73]
	s_waitcnt vmcnt(6) lgkmcnt(1)
	v_mul_f64 v[10:11], v[52:53], v[80:81]
	v_fma_f64 v[159:160], v[20:21], v[58:59], -v[14:15]
	v_mul_f64 v[80:81], v[50:51], v[80:81]
	v_fma_f64 v[2:3], v[106:107], v[62:63], -v[18:19]
	v_fma_f64 v[14:15], v[108:109], v[62:63], v[60:61]
	v_fma_f64 v[132:133], v[132:133], v[44:45], v[42:43]
	ds_read_b128 v[42:45], v138 offset:25920
	v_fma_f64 v[161:162], v[22:23], v[58:59], v[16:17]
	ds_read_b128 v[58:61], v138 offset:27360
	v_fma_f64 v[145:146], v[145:146], v[48:49], -v[8:9]
	ds_read_b128 v[46:49], v138 offset:40320
	v_fma_f64 v[108:109], v[153:154], v[66:67], -v[64:65]
	ds_read_b128 v[62:65], v138 offset:41760
	v_fma_f64 v[153:154], v[155:156], v[66:67], v[0:1]
	v_fma_f64 v[18:19], v[6:7], v[70:71], v[68:69]
	ds_read_b128 v[66:69], v138
	v_mul_f64 v[72:73], v[112:113], v[76:77]
	v_mul_f64 v[76:77], v[110:111], v[76:77]
	s_waitcnt vmcnt(5)
	v_mul_f64 v[165:166], v[116:117], v[84:85]
	v_mul_f64 v[84:85], v[114:115], v[84:85]
	v_fma_f64 v[8:9], v[4:5], v[70:71], -v[40:41]
	v_fma_f64 v[16:17], v[50:51], v[78:79], -v[10:11]
	v_fma_f64 v[22:23], v[52:53], v[78:79], v[80:81]
	v_add_f64 v[78:79], v[167:168], v[171:172]
	s_waitcnt vmcnt(4) lgkmcnt(5)
	v_mul_f64 v[106:107], v[120:121], v[88:89]
	v_mul_f64 v[88:89], v[118:119], v[88:89]
	s_waitcnt vmcnt(3) lgkmcnt(4)
	v_mul_f64 v[155:156], v[44:45], v[92:93]
	ds_read_b128 v[50:53], v137
	v_fma_f64 v[20:21], v[110:111], v[74:75], -v[72:73]
	ds_read_b128 v[70:73], v136
	v_fma_f64 v[40:41], v[112:113], v[74:75], v[76:77]
	v_mul_f64 v[74:75], v[42:43], v[92:93]
	v_fma_f64 v[0:1], v[114:115], v[82:83], -v[165:166]
	v_fma_f64 v[4:5], v[116:117], v[82:83], v[84:85]
	s_waitcnt vmcnt(1) lgkmcnt(5)
	v_mul_f64 v[82:83], v[60:61], v[100:101]
	v_add_f64 v[76:77], v[163:164], v[169:170]
	s_waitcnt lgkmcnt(4)
	v_mul_f64 v[80:81], v[48:49], v[96:97]
	v_mul_f64 v[92:93], v[46:47], v[96:97]
	v_add_f64 v[84:85], v[134:135], v[157:158]
	v_fma_f64 v[10:11], v[120:121], v[86:87], v[88:89]
	s_waitcnt vmcnt(0) lgkmcnt(3)
	v_mul_f64 v[88:89], v[64:65], v[104:105]
	v_add_f64 v[96:97], v[173:174], v[175:176]
	v_fma_f64 v[6:7], v[118:119], v[86:87], -v[106:107]
	v_mul_f64 v[86:87], v[58:59], v[100:101]
	v_mul_f64 v[100:101], v[62:63], v[104:105]
	s_waitcnt lgkmcnt(2)
	v_add_f64 v[104:105], v[68:69], v[167:168]
	v_add_f64 v[106:107], v[66:67], v[163:164]
	v_fma_f64 v[68:69], v[78:79], -0.5, v[68:69]
	v_add_f64 v[78:79], v[163:164], -v[169:170]
	v_fma_f64 v[42:43], v[42:43], v[90:91], -v[155:156]
	v_add_f64 v[110:111], v[122:123], -v[126:127]
	v_add_f64 v[114:115], v[161:162], v[14:15]
	v_add_f64 v[112:113], v[159:160], v[2:3]
	v_fma_f64 v[44:45], v[44:45], v[90:91], v[74:75]
	v_add_f64 v[74:75], v[122:123], v[126:127]
	s_waitcnt lgkmcnt(1)
	v_add_f64 v[90:91], v[50:51], v[134:135]
	v_fma_f64 v[163:164], v[58:59], v[98:99], -v[82:83]
	v_add_f64 v[82:83], v[124:125], v[128:129]
	v_fma_f64 v[66:67], v[76:77], -0.5, v[66:67]
	v_add_f64 v[76:77], v[167:168], -v[171:172]
	v_fma_f64 v[46:47], v[46:47], v[94:95], -v[80:81]
	v_fma_f64 v[48:49], v[48:49], v[94:95], v[92:93]
	v_add_f64 v[80:81], v[52:53], v[173:174]
	v_fma_f64 v[84:85], v[84:85], -0.5, v[50:51]
	v_add_f64 v[92:93], v[173:174], -v[175:176]
	v_fma_f64 v[50:51], v[62:63], v[102:103], -v[88:89]
	v_fma_f64 v[52:53], v[96:97], -0.5, v[52:53]
	v_add_f64 v[88:89], v[134:135], -v[157:158]
	s_waitcnt lgkmcnt(0)
	v_add_f64 v[96:97], v[70:71], v[122:123]
	v_fma_f64 v[167:168], v[64:65], v[102:103], v[100:101]
	v_add_f64 v[100:101], v[124:125], -v[128:129]
	v_fma_f64 v[165:166], v[60:61], v[98:99], v[86:87]
	v_add_f64 v[94:95], v[72:73], v[124:125]
	v_add_f64 v[60:61], v[104:105], v[171:172]
	;; [unrolled: 1-line block ×4, first 2 shown]
	v_fma_f64 v[70:71], v[74:75], -0.5, v[70:71]
	v_add_f64 v[104:105], v[132:133], v[147:148]
	v_fma_f64 v[64:65], v[78:79], s[6:7], v[68:69]
	v_fma_f64 v[106:107], v[82:83], -0.5, v[72:73]
	v_fma_f64 v[68:69], v[78:79], s[4:5], v[68:69]
	v_fma_f64 v[62:63], v[76:77], s[4:5], v[66:67]
	v_fma_f64 v[66:67], v[76:77], s[6:7], v[66:67]
	v_add_f64 v[120:121], v[149:150], v[130:131]
	v_add_f64 v[74:75], v[80:81], v[175:176]
	;; [unrolled: 1-line block ×3, first 2 shown]
	v_fma_f64 v[76:77], v[92:93], s[4:5], v[84:85]
	v_fma_f64 v[80:81], v[92:93], s[6:7], v[84:85]
	ds_read_b128 v[84:87], v57
	v_fma_f64 v[78:79], v[88:89], s[6:7], v[52:53]
	v_fma_f64 v[82:83], v[88:89], s[4:5], v[52:53]
	v_add_f64 v[52:53], v[151:152], v[132:133]
	v_add_f64 v[88:89], v[96:97], v[126:127]
	ds_read_b128 v[96:99], v56
	v_add_f64 v[90:91], v[94:95], v[128:129]
	v_add_f64 v[116:117], v[108:109], v[8:9]
	v_add_f64 v[126:127], v[130:131], -v[145:146]
	v_fma_f64 v[118:119], v[102:103], -0.5, v[149:150]
	v_fma_f64 v[92:93], v[100:101], s[4:5], v[70:71]
	v_fma_f64 v[100:101], v[100:101], s[6:7], v[70:71]
	v_add_f64 v[70:71], v[153:154], v[18:19]
	v_fma_f64 v[124:125], v[104:105], -0.5, v[151:152]
	v_fma_f64 v[94:95], v[110:111], s[6:7], v[106:107]
	v_fma_f64 v[102:103], v[110:111], s[4:5], v[106:107]
	ds_read_b128 v[104:107], v144
	v_add_f64 v[130:131], v[20:21], v[16:17]
	v_add_f64 v[151:152], v[40:41], v[22:23]
	v_add_f64 v[122:123], v[132:133], -v[147:148]
	s_waitcnt lgkmcnt(2)
	v_add_f64 v[134:135], v[84:85], v[159:160]
	v_fma_f64 v[132:133], v[112:113], -0.5, v[84:85]
	v_add_f64 v[149:150], v[161:162], -v[14:15]
	v_add_f64 v[128:129], v[86:87], v[161:162]
	v_add_f64 v[161:162], v[108:109], -v[8:9]
	v_add_f64 v[110:111], v[52:53], v[147:148]
	v_fma_f64 v[52:53], v[114:115], -0.5, v[86:87]
	ds_read_b128 v[112:115], v143
	v_add_f64 v[147:148], v[159:160], -v[2:3]
	s_waitcnt lgkmcnt(2)
	v_add_f64 v[157:158], v[98:99], v[153:154]
	v_add_f64 v[159:160], v[96:97], v[108:109]
	;; [unrolled: 1-line block ×3, first 2 shown]
	v_fma_f64 v[155:156], v[116:117], -0.5, v[96:97]
	v_add_f64 v[153:154], v[153:154], -v[18:19]
	v_fma_f64 v[70:71], v[70:71], -0.5, v[98:99]
	v_add_f64 v[173:174], v[20:21], -v[16:17]
	s_waitcnt lgkmcnt(1)
	v_add_f64 v[145:146], v[106:107], v[40:41]
	v_add_f64 v[169:170], v[104:105], v[20:21]
	v_add_f64 v[40:41], v[40:41], -v[22:23]
	v_fma_f64 v[171:172], v[130:131], -0.5, v[104:105]
	v_fma_f64 v[86:87], v[126:127], s[6:7], v[124:125]
	v_fma_f64 v[84:85], v[122:123], s[4:5], v[118:119]
	v_add_f64 v[116:117], v[134:135], v[2:3]
	v_fma_f64 v[2:3], v[151:152], -0.5, v[106:107]
	v_fma_f64 v[96:97], v[122:123], s[6:7], v[118:119]
	v_fma_f64 v[104:105], v[149:150], s[4:5], v[132:133]
	;; [unrolled: 1-line block ×3, first 2 shown]
	ds_read_b128 v[132:135], v55
	v_fma_f64 v[98:99], v[126:127], s[4:5], v[124:125]
	v_add_f64 v[118:119], v[128:129], v[14:15]
	v_fma_f64 v[106:107], v[147:148], s[6:7], v[52:53]
	v_fma_f64 v[122:123], v[147:148], s[4:5], v[52:53]
	v_add_f64 v[20:21], v[157:158], v[18:19]
	v_add_f64 v[18:19], v[159:160], v[8:9]
	;; [unrolled: 1-line block ×4, first 2 shown]
	v_fma_f64 v[126:127], v[161:162], s[6:7], v[70:71]
	v_fma_f64 v[130:131], v[161:162], s[4:5], v[70:71]
	v_add_f64 v[147:148], v[145:146], v[22:23]
	v_add_f64 v[22:23], v[42:43], v[46:47]
	;; [unrolled: 1-line block ×4, first 2 shown]
	ds_read_b128 v[14:17], v54
	v_fma_f64 v[124:125], v[153:154], s[4:5], v[155:156]
	v_fma_f64 v[128:129], v[153:154], s[6:7], v[155:156]
	;; [unrolled: 1-line block ×4, first 2 shown]
	v_add_f64 v[40:41], v[163:164], v[50:51]
	v_fma_f64 v[151:152], v[173:174], s[6:7], v[2:3]
	v_fma_f64 v[155:156], v[173:174], s[4:5], v[2:3]
	v_add_f64 v[2:3], v[165:166], v[167:168]
	s_waitcnt lgkmcnt(0)
	s_barrier
	buffer_gl0_inv
	ds_write_b128 v138, v[58:61]
	ds_write_b128 v138, v[62:65] offset:14400
	ds_write_b128 v138, v[66:69] offset:28800
	v_add_f64 v[58:59], v[134:135], v[4:5]
	v_add_f64 v[60:61], v[132:133], v[0:1]
	v_fma_f64 v[8:9], v[8:9], -0.5, v[132:133]
	v_add_f64 v[62:63], v[4:5], -v[10:11]
	v_fma_f64 v[52:53], v[52:53], -0.5, v[134:135]
	v_add_f64 v[64:65], v[0:1], -v[6:7]
	v_add_f64 v[134:135], v[114:115], v[165:166]
	v_fma_f64 v[22:23], v[22:23], -0.5, v[14:15]
	v_add_f64 v[66:67], v[16:17], v[44:45]
	v_add_f64 v[14:15], v[14:15], v[42:43]
	v_add_f64 v[44:45], v[44:45], -v[48:49]
	v_fma_f64 v[68:69], v[70:71], -0.5, v[16:17]
	v_add_f64 v[70:71], v[42:43], -v[46:47]
	v_add_f64 v[157:158], v[165:166], -v[167:168]
	v_fma_f64 v[132:133], v[40:41], -0.5, v[112:113]
	v_add_f64 v[112:113], v[112:113], v[163:164]
	v_add_f64 v[159:160], v[163:164], -v[50:51]
	v_fma_f64 v[114:115], v[2:3], -0.5, v[114:115]
	ds_write_b128 v137, v[72:75]
	ds_write_b128 v137, v[76:79] offset:14400
	ds_write_b128 v137, v[80:83] offset:28800
	ds_write_b128 v136, v[88:91]
	ds_write_b128 v136, v[92:95] offset:14400
	v_add_f64 v[2:3], v[58:59], v[10:11]
	v_add_f64 v[0:1], v[60:61], v[6:7]
	v_fma_f64 v[4:5], v[62:63], s[4:5], v[8:9]
	v_fma_f64 v[8:9], v[62:63], s[6:7], v[8:9]
	;; [unrolled: 1-line block ×4, first 2 shown]
	v_add_f64 v[52:53], v[134:135], v[167:168]
	v_add_f64 v[16:17], v[66:67], v[48:49]
	v_add_f64 v[14:15], v[14:15], v[46:47]
	v_fma_f64 v[40:41], v[44:45], s[4:5], v[22:23]
	v_fma_f64 v[44:45], v[44:45], s[6:7], v[22:23]
	;; [unrolled: 1-line block ×5, first 2 shown]
	v_add_f64 v[50:51], v[112:113], v[50:51]
	v_fma_f64 v[62:63], v[157:158], s[6:7], v[132:133]
	v_fma_f64 v[60:61], v[159:160], s[6:7], v[114:115]
	;; [unrolled: 1-line block ×3, first 2 shown]
	ds_write_b128 v136, v[100:103] offset:28800
	ds_write_b128 v141, v[108:111]
	ds_write_b128 v141, v[84:87] offset:14400
	ds_write_b128 v141, v[96:99] offset:28800
	ds_write_b128 v57, v[116:119]
	ds_write_b128 v57, v[104:107] offset:14400
	;; [unrolled: 3-line block ×7, first 2 shown]
	ds_write_b128 v143, v[62:65] offset:28800
	s_waitcnt lgkmcnt(0)
	s_barrier
	buffer_gl0_inv
	ds_read_b128 v[4:7], v138
	v_sub_nc_u32_e32 v10, 0, v25
	s_addc_u32 s4, s13, 0
	s_mov_b32 s5, exec_lo
                                        ; implicit-def: $vgpr2_vgpr3
                                        ; implicit-def: $vgpr8_vgpr9
	v_cmpx_ne_u32_e32 0, v24
	s_xor_b32 s5, exec_lo, s5
	s_cbranch_execz .LBB0_15
; %bb.14:
	v_mov_b32_e32 v25, v13
	v_lshlrev_b64 v[0:1], 4, v[24:25]
	v_add_co_u32 v0, s0, s1, v0
	v_add_co_ci_u32_e64 v1, s0, s4, v1, s0
	global_load_dwordx4 v[11:14], v[0:1], off
	ds_read_b128 v[0:3], v10 offset:43200
	s_waitcnt lgkmcnt(0)
	v_add_f64 v[8:9], v[4:5], -v[0:1]
	v_add_f64 v[15:16], v[6:7], v[2:3]
	v_add_f64 v[2:3], v[6:7], -v[2:3]
	v_add_f64 v[0:1], v[4:5], v[0:1]
	v_mul_f64 v[6:7], v[8:9], 0.5
	v_mul_f64 v[4:5], v[15:16], 0.5
	;; [unrolled: 1-line block ×3, first 2 shown]
	s_waitcnt vmcnt(0)
	v_mul_f64 v[8:9], v[6:7], v[13:14]
	v_fma_f64 v[15:16], v[4:5], v[13:14], v[2:3]
	v_fma_f64 v[2:3], v[4:5], v[13:14], -v[2:3]
	v_fma_f64 v[17:18], v[0:1], 0.5, v[8:9]
	v_fma_f64 v[0:1], v[0:1], 0.5, -v[8:9]
	v_fma_f64 v[8:9], -v[11:12], v[6:7], v[15:16]
	v_fma_f64 v[2:3], -v[11:12], v[6:7], v[2:3]
	v_fma_f64 v[13:14], v[4:5], v[11:12], v[17:18]
	v_fma_f64 v[0:1], -v[4:5], v[11:12], v[0:1]
                                        ; implicit-def: $vgpr4_vgpr5
	ds_write_b64 v138, v[13:14]
.LBB0_15:
	s_or_saveexec_b32 s0, s5
	v_sub_nc_u32_e32 v12, 0, v29
	v_sub_nc_u32_e32 v11, 0, v142
	s_xor_b32 exec_lo, exec_lo, s0
	s_cbranch_execz .LBB0_17
; %bb.16:
	v_mov_b32_e32 v17, 0
	s_waitcnt lgkmcnt(0)
	v_add_f64 v[15:16], v[4:5], v[6:7]
	v_add_f64 v[0:1], v[4:5], -v[6:7]
	v_mov_b32_e32 v8, 0
	v_mov_b32_e32 v9, 0
	ds_read_b64 v[13:14], v17 offset:21608
	v_mov_b32_e32 v2, v8
	v_mov_b32_e32 v3, v9
	s_waitcnt lgkmcnt(0)
	v_xor_b32_e32 v14, 0x80000000, v14
	ds_write_b64 v138, v[15:16]
	ds_write_b64 v17, v[13:14] offset:21608
.LBB0_17:
	s_or_b32 exec_lo, exec_lo, s0
	v_mov_b32_e32 v29, 0
	ds_write_b64 v138, v[8:9] offset:8
	ds_write_b128 v10, v[0:3] offset:43200
	s_waitcnt lgkmcnt(2)
	v_lshlrev_b64 v[4:5], 4, v[28:29]
	v_mov_b32_e32 v40, v29
	v_add_nc_u32_e32 v28, 0x384, v24
	v_lshlrev_b64 v[13:14], 4, v[39:40]
	v_add_co_u32 v4, s0, s1, v4
	v_add_co_ci_u32_e64 v5, s0, s4, v5, s0
	v_mov_b32_e32 v39, v29
	v_add_co_u32 v13, s0, s1, v13
	global_load_dwordx4 v[4:7], v[4:5], off
	v_add_co_ci_u32_e64 v14, s0, s4, v14, s0
	v_lshlrev_b64 v[8:9], 4, v[38:39]
	v_mov_b32_e32 v38, v29
	global_load_dwordx4 v[13:16], v[13:14], off
	ds_read_b128 v[0:3], v137
	ds_read_b128 v[17:20], v10 offset:41760
	v_add_co_u32 v8, s0, s1, v8
	v_add_co_ci_u32_e64 v9, s0, s4, v9, s0
	global_load_dwordx4 v[39:42], v[8:9], off
	s_waitcnt lgkmcnt(0)
	v_add_f64 v[8:9], v[0:1], -v[17:18]
	v_add_f64 v[21:22], v[2:3], v[19:20]
	v_add_f64 v[2:3], v[2:3], -v[19:20]
	v_add_f64 v[0:1], v[0:1], v[17:18]
	v_mul_f64 v[8:9], v[8:9], 0.5
	v_mul_f64 v[19:20], v[21:22], 0.5
	;; [unrolled: 1-line block ×3, first 2 shown]
	s_waitcnt vmcnt(2)
	v_mul_f64 v[17:18], v[8:9], v[6:7]
	v_fma_f64 v[21:22], v[19:20], v[6:7], v[2:3]
	v_fma_f64 v[6:7], v[19:20], v[6:7], -v[2:3]
	v_fma_f64 v[43:44], v[0:1], 0.5, v[17:18]
	v_fma_f64 v[17:18], v[0:1], 0.5, -v[17:18]
	v_fma_f64 v[2:3], -v[4:5], v[8:9], v[21:22]
	v_fma_f64 v[6:7], -v[4:5], v[8:9], v[6:7]
	v_lshlrev_b64 v[8:9], 4, v[37:38]
	v_add_co_u32 v8, s0, s1, v8
	v_add_co_ci_u32_e64 v9, s0, s4, v9, s0
	v_fma_f64 v[0:1], v[19:20], v[4:5], v[43:44]
	v_fma_f64 v[4:5], -v[19:20], v[4:5], v[17:18]
	ds_write_b128 v137, v[0:3]
	ds_write_b128 v10, v[4:7] offset:41760
	ds_read_b128 v[0:3], v136
	ds_read_b128 v[4:7], v10 offset:40320
	global_load_dwordx4 v[17:20], v[8:9], off
	s_waitcnt lgkmcnt(0)
	v_add_f64 v[8:9], v[0:1], -v[4:5]
	v_add_f64 v[21:22], v[2:3], v[6:7]
	v_add_f64 v[2:3], v[2:3], -v[6:7]
	v_add_f64 v[0:1], v[0:1], v[4:5]
	v_mul_f64 v[6:7], v[8:9], 0.5
	v_mul_f64 v[8:9], v[21:22], 0.5
	;; [unrolled: 1-line block ×3, first 2 shown]
	s_waitcnt vmcnt(2)
	v_mul_f64 v[4:5], v[6:7], v[15:16]
	v_fma_f64 v[21:22], v[8:9], v[15:16], v[2:3]
	v_fma_f64 v[15:16], v[8:9], v[15:16], -v[2:3]
	v_fma_f64 v[37:38], v[0:1], 0.5, v[4:5]
	v_fma_f64 v[4:5], v[0:1], 0.5, -v[4:5]
	v_fma_f64 v[2:3], -v[13:14], v[6:7], v[21:22]
	v_fma_f64 v[6:7], -v[13:14], v[6:7], v[15:16]
	v_fma_f64 v[0:1], v[8:9], v[13:14], v[37:38]
	v_fma_f64 v[4:5], -v[8:9], v[13:14], v[4:5]
	v_mov_b32_e32 v37, v29
	ds_write_b128 v136, v[0:3]
	ds_write_b128 v10, v[4:7] offset:40320
	v_lshlrev_b64 v[8:9], 4, v[36:37]
	ds_read_b128 v[0:3], v141
	ds_read_b128 v[4:7], v10 offset:38880
	v_add_co_u32 v8, s0, s1, v8
	v_add_co_ci_u32_e64 v9, s0, s4, v9, s0
	global_load_dwordx4 v[13:16], v[8:9], off
	s_waitcnt lgkmcnt(0)
	v_add_f64 v[8:9], v[0:1], -v[4:5]
	v_add_f64 v[21:22], v[2:3], v[6:7]
	v_add_f64 v[2:3], v[2:3], -v[6:7]
	v_add_f64 v[0:1], v[0:1], v[4:5]
	v_mul_f64 v[6:7], v[8:9], 0.5
	v_mul_f64 v[8:9], v[21:22], 0.5
	v_mul_f64 v[2:3], v[2:3], 0.5
	s_waitcnt vmcnt(2)
	v_mul_f64 v[4:5], v[6:7], v[41:42]
	v_fma_f64 v[21:22], v[8:9], v[41:42], v[2:3]
	v_fma_f64 v[36:37], v[8:9], v[41:42], -v[2:3]
	v_fma_f64 v[41:42], v[0:1], 0.5, v[4:5]
	v_fma_f64 v[4:5], v[0:1], 0.5, -v[4:5]
	v_fma_f64 v[2:3], -v[39:40], v[6:7], v[21:22]
	v_fma_f64 v[6:7], -v[39:40], v[6:7], v[36:37]
	v_mov_b32_e32 v36, v29
	v_fma_f64 v[0:1], v[8:9], v[39:40], v[41:42]
	v_fma_f64 v[4:5], -v[8:9], v[39:40], v[4:5]
	v_lshlrev_b64 v[8:9], 4, v[35:36]
	v_mov_b32_e32 v35, v29
	ds_write_b128 v141, v[0:3]
	ds_write_b128 v10, v[4:7] offset:38880
	v_add_co_u32 v8, s0, s1, v8
	ds_read_b128 v[0:3], v57
	ds_read_b128 v[4:7], v10 offset:37440
	v_add_co_ci_u32_e64 v9, s0, s4, v9, s0
	global_load_dwordx4 v[36:39], v[8:9], off
	s_waitcnt lgkmcnt(0)
	v_add_f64 v[8:9], v[0:1], -v[4:5]
	v_add_f64 v[21:22], v[2:3], v[6:7]
	v_add_f64 v[2:3], v[2:3], -v[6:7]
	v_add_f64 v[0:1], v[0:1], v[4:5]
	v_mul_f64 v[6:7], v[8:9], 0.5
	v_mul_f64 v[8:9], v[21:22], 0.5
	;; [unrolled: 1-line block ×3, first 2 shown]
	s_waitcnt vmcnt(2)
	v_mul_f64 v[4:5], v[6:7], v[19:20]
	v_fma_f64 v[21:22], v[8:9], v[19:20], v[2:3]
	v_fma_f64 v[19:20], v[8:9], v[19:20], -v[2:3]
	v_fma_f64 v[40:41], v[0:1], 0.5, v[4:5]
	v_fma_f64 v[4:5], v[0:1], 0.5, -v[4:5]
	v_fma_f64 v[2:3], -v[17:18], v[6:7], v[21:22]
	v_fma_f64 v[6:7], -v[17:18], v[6:7], v[19:20]
	v_fma_f64 v[0:1], v[8:9], v[17:18], v[40:41]
	v_fma_f64 v[4:5], -v[8:9], v[17:18], v[4:5]
	v_lshlrev_b64 v[8:9], 4, v[34:35]
	ds_write_b128 v57, v[0:3]
	ds_write_b128 v10, v[4:7] offset:37440
	v_add_co_u32 v8, s0, s1, v8
	ds_read_b128 v[0:3], v56
	ds_read_b128 v[4:7], v10 offset:36000
	v_add_co_ci_u32_e64 v9, s0, s4, v9, s0
	global_load_dwordx4 v[17:20], v[8:9], off
	s_waitcnt lgkmcnt(0)
	v_add_f64 v[8:9], v[0:1], -v[4:5]
	v_add_f64 v[21:22], v[2:3], v[6:7]
	v_add_f64 v[2:3], v[2:3], -v[6:7]
	v_add_f64 v[0:1], v[0:1], v[4:5]
	v_mul_f64 v[6:7], v[8:9], 0.5
	v_mul_f64 v[8:9], v[21:22], 0.5
	v_mul_f64 v[2:3], v[2:3], 0.5
	s_waitcnt vmcnt(2)
	v_mul_f64 v[4:5], v[6:7], v[15:16]
	v_fma_f64 v[21:22], v[8:9], v[15:16], v[2:3]
	v_fma_f64 v[15:16], v[8:9], v[15:16], -v[2:3]
	v_fma_f64 v[34:35], v[0:1], 0.5, v[4:5]
	v_fma_f64 v[4:5], v[0:1], 0.5, -v[4:5]
	v_fma_f64 v[2:3], -v[13:14], v[6:7], v[21:22]
	v_fma_f64 v[6:7], -v[13:14], v[6:7], v[15:16]
	v_add_nc_u32_e32 v16, v140, v12
	v_fma_f64 v[0:1], v[8:9], v[13:14], v[34:35]
	v_fma_f64 v[4:5], -v[8:9], v[13:14], v[4:5]
	v_mov_b32_e32 v34, v29
	ds_write_b128 v56, v[0:3]
	ds_write_b128 v10, v[4:7] offset:36000
	v_lshlrev_b64 v[8:9], 4, v[33:34]
	ds_read_b128 v[0:3], v16
	ds_read_b128 v[4:7], v10 offset:34560
	v_add_co_u32 v8, s0, s1, v8
	v_add_co_ci_u32_e64 v9, s0, s4, v9, s0
	global_load_dwordx4 v[12:15], v[8:9], off
	s_waitcnt lgkmcnt(0)
	v_add_f64 v[8:9], v[0:1], -v[4:5]
	v_add_f64 v[21:22], v[2:3], v[6:7]
	v_add_f64 v[2:3], v[2:3], -v[6:7]
	v_add_f64 v[0:1], v[0:1], v[4:5]
	v_mul_f64 v[6:7], v[8:9], 0.5
	v_mul_f64 v[8:9], v[21:22], 0.5
	;; [unrolled: 1-line block ×3, first 2 shown]
	s_waitcnt vmcnt(2)
	v_mul_f64 v[4:5], v[6:7], v[38:39]
	v_fma_f64 v[21:22], v[8:9], v[38:39], v[2:3]
	v_fma_f64 v[33:34], v[8:9], v[38:39], -v[2:3]
	v_fma_f64 v[38:39], v[0:1], 0.5, v[4:5]
	v_fma_f64 v[4:5], v[0:1], 0.5, -v[4:5]
	v_fma_f64 v[2:3], -v[36:37], v[6:7], v[21:22]
	v_fma_f64 v[6:7], -v[36:37], v[6:7], v[33:34]
	v_mov_b32_e32 v33, v29
	v_fma_f64 v[0:1], v[8:9], v[36:37], v[38:39]
	v_fma_f64 v[4:5], -v[8:9], v[36:37], v[4:5]
	v_lshlrev_b64 v[8:9], 4, v[32:33]
	ds_write_b128 v16, v[0:3]
	ds_write_b128 v10, v[4:7] offset:34560
	v_add_co_u32 v8, s0, s1, v8
	ds_read_b128 v[0:3], v55
	ds_read_b128 v[4:7], v10 offset:33120
	v_add_co_ci_u32_e64 v9, s0, s4, v9, s0
	global_load_dwordx4 v[32:35], v[8:9], off
	s_waitcnt lgkmcnt(0)
	v_add_f64 v[8:9], v[0:1], -v[4:5]
	v_add_f64 v[21:22], v[2:3], v[6:7]
	v_add_f64 v[2:3], v[2:3], -v[6:7]
	v_add_f64 v[0:1], v[0:1], v[4:5]
	v_mul_f64 v[6:7], v[8:9], 0.5
	v_mul_f64 v[8:9], v[21:22], 0.5
	;; [unrolled: 1-line block ×3, first 2 shown]
	s_waitcnt vmcnt(2)
	v_mul_f64 v[4:5], v[6:7], v[19:20]
	v_fma_f64 v[21:22], v[8:9], v[19:20], v[2:3]
	v_fma_f64 v[19:20], v[8:9], v[19:20], -v[2:3]
	v_fma_f64 v[36:37], v[0:1], 0.5, v[4:5]
	v_fma_f64 v[4:5], v[0:1], 0.5, -v[4:5]
	v_fma_f64 v[2:3], -v[17:18], v[6:7], v[21:22]
	v_fma_f64 v[6:7], -v[17:18], v[6:7], v[19:20]
	v_fma_f64 v[0:1], v[8:9], v[17:18], v[36:37]
	v_fma_f64 v[4:5], -v[8:9], v[17:18], v[4:5]
	v_lshlrev_b64 v[8:9], 4, v[28:29]
	v_add_nc_u32_e32 v28, 0x3de, v24
	ds_write_b128 v55, v[0:3]
	ds_write_b128 v10, v[4:7] offset:33120
	v_add_co_u32 v8, s0, s1, v8
	ds_read_b128 v[0:3], v54
	ds_read_b128 v[4:7], v10 offset:31680
	v_add_co_ci_u32_e64 v9, s0, s4, v9, s0
	global_load_dwordx4 v[16:19], v[8:9], off
	s_waitcnt lgkmcnt(0)
	v_add_f64 v[8:9], v[0:1], -v[4:5]
	v_add_f64 v[20:21], v[2:3], v[6:7]
	v_add_f64 v[2:3], v[2:3], -v[6:7]
	v_add_f64 v[0:1], v[0:1], v[4:5]
	v_mul_f64 v[6:7], v[8:9], 0.5
	v_mul_f64 v[8:9], v[20:21], 0.5
	;; [unrolled: 1-line block ×3, first 2 shown]
	s_waitcnt vmcnt(2)
	v_mul_f64 v[4:5], v[6:7], v[14:15]
	v_fma_f64 v[20:21], v[8:9], v[14:15], v[2:3]
	v_fma_f64 v[14:15], v[8:9], v[14:15], -v[2:3]
	v_fma_f64 v[22:23], v[0:1], 0.5, v[4:5]
	v_fma_f64 v[4:5], v[0:1], 0.5, -v[4:5]
	v_fma_f64 v[2:3], -v[12:13], v[6:7], v[20:21]
	v_fma_f64 v[6:7], -v[12:13], v[6:7], v[14:15]
	v_add_nc_u32_e32 v15, v139, v11
	v_fma_f64 v[0:1], v[8:9], v[12:13], v[22:23]
	v_fma_f64 v[4:5], -v[8:9], v[12:13], v[4:5]
	v_lshlrev_b64 v[8:9], 4, v[28:29]
	v_add_nc_u32_e32 v28, 0x438, v24
	ds_write_b128 v54, v[0:3]
	ds_write_b128 v10, v[4:7] offset:31680
	v_add_co_u32 v8, s0, s1, v8
	ds_read_b128 v[0:3], v15
	ds_read_b128 v[4:7], v10 offset:30240
	v_add_co_ci_u32_e64 v9, s0, s4, v9, s0
	global_load_dwordx4 v[11:14], v[8:9], off
	s_waitcnt lgkmcnt(0)
	v_add_f64 v[8:9], v[0:1], -v[4:5]
	v_add_f64 v[20:21], v[2:3], v[6:7]
	v_add_f64 v[2:3], v[2:3], -v[6:7]
	v_add_f64 v[0:1], v[0:1], v[4:5]
	v_mul_f64 v[6:7], v[8:9], 0.5
	v_mul_f64 v[8:9], v[20:21], 0.5
	;; [unrolled: 1-line block ×3, first 2 shown]
	s_waitcnt vmcnt(2)
	v_mul_f64 v[4:5], v[6:7], v[34:35]
	v_fma_f64 v[20:21], v[8:9], v[34:35], v[2:3]
	v_fma_f64 v[22:23], v[8:9], v[34:35], -v[2:3]
	v_fma_f64 v[34:35], v[0:1], 0.5, v[4:5]
	v_fma_f64 v[4:5], v[0:1], 0.5, -v[4:5]
	v_fma_f64 v[2:3], -v[32:33], v[6:7], v[20:21]
	v_fma_f64 v[6:7], -v[32:33], v[6:7], v[22:23]
	v_fma_f64 v[0:1], v[8:9], v[32:33], v[34:35]
	v_fma_f64 v[4:5], -v[8:9], v[32:33], v[4:5]
	v_lshlrev_b64 v[8:9], 4, v[28:29]
	v_add_nc_u32_e32 v28, 0x492, v24
	ds_write_b128 v15, v[0:3]
	ds_write_b128 v10, v[4:7] offset:30240
	v_add_co_u32 v8, s0, s1, v8
	ds_read_b128 v[0:3], v138 offset:14400
	ds_read_b128 v[4:7], v10 offset:28800
	v_add_co_ci_u32_e64 v9, s0, s4, v9, s0
	global_load_dwordx4 v[20:23], v[8:9], off
	s_waitcnt lgkmcnt(0)
	v_add_f64 v[8:9], v[0:1], -v[4:5]
	v_add_f64 v[32:33], v[2:3], v[6:7]
	v_add_f64 v[2:3], v[2:3], -v[6:7]
	v_add_f64 v[0:1], v[0:1], v[4:5]
	v_mul_f64 v[6:7], v[8:9], 0.5
	v_mul_f64 v[8:9], v[32:33], 0.5
	;; [unrolled: 1-line block ×3, first 2 shown]
	s_waitcnt vmcnt(2)
	v_mul_f64 v[4:5], v[6:7], v[18:19]
	v_fma_f64 v[32:33], v[8:9], v[18:19], v[2:3]
	v_fma_f64 v[18:19], v[8:9], v[18:19], -v[2:3]
	v_fma_f64 v[34:35], v[0:1], 0.5, v[4:5]
	v_fma_f64 v[4:5], v[0:1], 0.5, -v[4:5]
	v_fma_f64 v[2:3], -v[16:17], v[6:7], v[32:33]
	v_fma_f64 v[6:7], -v[16:17], v[6:7], v[18:19]
	v_fma_f64 v[0:1], v[8:9], v[16:17], v[34:35]
	v_fma_f64 v[4:5], -v[8:9], v[16:17], v[4:5]
	v_lshlrev_b64 v[8:9], 4, v[28:29]
	ds_write_b128 v138, v[0:3] offset:14400
	ds_write_b128 v10, v[4:7] offset:28800
	v_add_co_u32 v8, s0, s1, v8
	ds_read_b128 v[0:3], v138 offset:15840
	ds_read_b128 v[4:7], v10 offset:27360
	v_add_co_ci_u32_e64 v9, s0, s4, v9, s0
	v_add_nc_u32_e32 v28, 0x4ec, v24
	global_load_dwordx4 v[15:18], v[8:9], off
	s_waitcnt lgkmcnt(0)
	v_add_f64 v[8:9], v[0:1], -v[4:5]
	v_add_f64 v[32:33], v[2:3], v[6:7]
	v_add_f64 v[2:3], v[2:3], -v[6:7]
	v_add_f64 v[0:1], v[0:1], v[4:5]
	v_mul_f64 v[6:7], v[8:9], 0.5
	v_mul_f64 v[8:9], v[32:33], 0.5
	;; [unrolled: 1-line block ×3, first 2 shown]
	s_waitcnt vmcnt(2)
	v_mul_f64 v[4:5], v[6:7], v[13:14]
	v_fma_f64 v[32:33], v[8:9], v[13:14], v[2:3]
	v_fma_f64 v[13:14], v[8:9], v[13:14], -v[2:3]
	v_fma_f64 v[34:35], v[0:1], 0.5, v[4:5]
	v_fma_f64 v[4:5], v[0:1], 0.5, -v[4:5]
	v_fma_f64 v[2:3], -v[11:12], v[6:7], v[32:33]
	v_fma_f64 v[6:7], -v[11:12], v[6:7], v[13:14]
	v_fma_f64 v[0:1], v[8:9], v[11:12], v[34:35]
	v_fma_f64 v[4:5], -v[8:9], v[11:12], v[4:5]
	v_lshlrev_b64 v[8:9], 4, v[28:29]
	ds_write_b128 v138, v[0:3] offset:15840
	ds_write_b128 v10, v[4:7] offset:27360
	v_add_co_u32 v8, s0, s1, v8
	ds_read_b128 v[0:3], v138 offset:17280
	ds_read_b128 v[4:7], v10 offset:25920
	v_add_co_ci_u32_e64 v9, s0, s4, v9, s0
	global_load_dwordx4 v[11:14], v[8:9], off
	s_waitcnt lgkmcnt(0)
	v_add_f64 v[8:9], v[0:1], -v[4:5]
	v_add_f64 v[32:33], v[2:3], v[6:7]
	v_add_f64 v[2:3], v[2:3], -v[6:7]
	v_add_f64 v[0:1], v[0:1], v[4:5]
	v_mul_f64 v[6:7], v[8:9], 0.5
	v_mul_f64 v[8:9], v[32:33], 0.5
	;; [unrolled: 1-line block ×3, first 2 shown]
	s_waitcnt vmcnt(2)
	v_mul_f64 v[4:5], v[6:7], v[22:23]
	v_fma_f64 v[32:33], v[8:9], v[22:23], v[2:3]
	v_fma_f64 v[22:23], v[8:9], v[22:23], -v[2:3]
	v_fma_f64 v[34:35], v[0:1], 0.5, v[4:5]
	v_fma_f64 v[4:5], v[0:1], 0.5, -v[4:5]
	v_fma_f64 v[2:3], -v[20:21], v[6:7], v[32:33]
	v_fma_f64 v[6:7], -v[20:21], v[6:7], v[22:23]
	v_fma_f64 v[0:1], v[8:9], v[20:21], v[34:35]
	v_fma_f64 v[4:5], -v[8:9], v[20:21], v[4:5]
	ds_write_b128 v138, v[0:3] offset:17280
	ds_write_b128 v10, v[4:7] offset:25920
	ds_read_b128 v[0:3], v138 offset:18720
	ds_read_b128 v[4:7], v10 offset:24480
	s_waitcnt lgkmcnt(0)
	v_add_f64 v[8:9], v[0:1], -v[4:5]
	v_add_f64 v[19:20], v[2:3], v[6:7]
	v_add_f64 v[2:3], v[2:3], -v[6:7]
	v_add_f64 v[0:1], v[0:1], v[4:5]
	v_mul_f64 v[6:7], v[8:9], 0.5
	v_mul_f64 v[8:9], v[19:20], 0.5
	;; [unrolled: 1-line block ×3, first 2 shown]
	s_waitcnt vmcnt(1)
	v_mul_f64 v[4:5], v[6:7], v[17:18]
	v_fma_f64 v[19:20], v[8:9], v[17:18], v[2:3]
	v_fma_f64 v[17:18], v[8:9], v[17:18], -v[2:3]
	v_fma_f64 v[21:22], v[0:1], 0.5, v[4:5]
	v_fma_f64 v[4:5], v[0:1], 0.5, -v[4:5]
	v_fma_f64 v[2:3], -v[15:16], v[6:7], v[19:20]
	v_fma_f64 v[6:7], -v[15:16], v[6:7], v[17:18]
	v_fma_f64 v[0:1], v[8:9], v[15:16], v[21:22]
	v_fma_f64 v[4:5], -v[8:9], v[15:16], v[4:5]
	ds_write_b128 v138, v[0:3] offset:18720
	ds_write_b128 v10, v[4:7] offset:24480
	ds_read_b128 v[0:3], v138 offset:20160
	ds_read_b128 v[4:7], v10 offset:23040
	s_waitcnt lgkmcnt(0)
	v_add_f64 v[8:9], v[0:1], -v[4:5]
	v_add_f64 v[15:16], v[2:3], v[6:7]
	v_add_f64 v[2:3], v[2:3], -v[6:7]
	v_add_f64 v[0:1], v[0:1], v[4:5]
	v_mul_f64 v[6:7], v[8:9], 0.5
	v_mul_f64 v[8:9], v[15:16], 0.5
	;; [unrolled: 1-line block ×3, first 2 shown]
	s_waitcnt vmcnt(0)
	v_mul_f64 v[4:5], v[6:7], v[13:14]
	v_fma_f64 v[15:16], v[8:9], v[13:14], v[2:3]
	v_fma_f64 v[13:14], v[8:9], v[13:14], -v[2:3]
	v_fma_f64 v[17:18], v[0:1], 0.5, v[4:5]
	v_fma_f64 v[4:5], v[0:1], 0.5, -v[4:5]
	v_fma_f64 v[2:3], -v[11:12], v[6:7], v[15:16]
	v_fma_f64 v[6:7], -v[11:12], v[6:7], v[13:14]
	v_fma_f64 v[0:1], v[8:9], v[11:12], v[17:18]
	v_fma_f64 v[4:5], -v[8:9], v[11:12], v[4:5]
	ds_write_b128 v138, v[0:3] offset:20160
	ds_write_b128 v10, v[4:7] offset:23040
	s_waitcnt lgkmcnt(0)
	s_barrier
	buffer_gl0_inv
	s_and_saveexec_b32 s0, vcc_lo
	s_cbranch_execz .LBB0_20
; %bb.18:
	v_mul_lo_u32 v2, s3, v30
	v_mul_lo_u32 v3, s2, v31
	v_mad_u64_u32 v[0:1], null, s2, v30, 0
	v_lshl_add_u32 v30, v24, 4, 0
	v_mov_b32_e32 v25, v29
	v_lshlrev_b64 v[10:11], 4, v[26:27]
	v_add_nc_u32_e32 v28, 0x5a, v24
	ds_read_b128 v[6:9], v30 offset:1440
	v_add3_u32 v1, v1, v3, v2
	ds_read_b128 v[2:5], v30
	v_lshlrev_b64 v[12:13], 4, v[24:25]
	v_lshlrev_b64 v[14:15], 4, v[28:29]
	v_add_nc_u32_e32 v28, 0xb4, v24
	v_lshlrev_b64 v[0:1], 4, v[0:1]
	v_lshlrev_b64 v[18:19], 4, v[28:29]
	v_add_nc_u32_e32 v28, 0x10e, v24
	v_add_co_u32 v0, vcc_lo, s10, v0
	v_add_co_ci_u32_e32 v1, vcc_lo, s11, v1, vcc_lo
	v_lshlrev_b64 v[20:21], 4, v[28:29]
	v_add_co_u32 v0, vcc_lo, v0, v10
	v_add_co_ci_u32_e32 v1, vcc_lo, v1, v11, vcc_lo
	v_add_nc_u32_e32 v28, 0x168, v24
	v_add_co_u32 v16, vcc_lo, v0, v12
	v_add_co_ci_u32_e32 v17, vcc_lo, v1, v13, vcc_lo
	ds_read_b128 v[10:13], v30 offset:41760
	v_add_co_u32 v14, vcc_lo, v0, v14
	v_add_co_ci_u32_e32 v15, vcc_lo, v1, v15, vcc_lo
	s_waitcnt lgkmcnt(1)
	global_store_dwordx4 v[16:17], v[2:5], off
	ds_read_b128 v[2:5], v30 offset:2880
	v_add_co_u32 v18, vcc_lo, v0, v18
	global_store_dwordx4 v[14:15], v[6:9], off
	ds_read_b128 v[6:9], v30 offset:4320
	ds_read_b128 v[14:17], v30 offset:5760
	v_lshlrev_b64 v[22:23], 4, v[28:29]
	v_add_co_ci_u32_e32 v19, vcc_lo, v1, v19, vcc_lo
	v_add_co_u32 v20, vcc_lo, v0, v20
	v_add_co_ci_u32_e32 v21, vcc_lo, v1, v21, vcc_lo
	v_add_nc_u32_e32 v28, 0x1c2, v24
	v_add_co_u32 v22, vcc_lo, v0, v22
	v_add_co_ci_u32_e32 v23, vcc_lo, v1, v23, vcc_lo
	s_waitcnt lgkmcnt(2)
	global_store_dwordx4 v[18:19], v[2:5], off
	v_lshlrev_b64 v[18:19], 4, v[28:29]
	v_add_nc_u32_e32 v28, 0x21c, v24
	s_waitcnt lgkmcnt(1)
	global_store_dwordx4 v[20:21], v[6:9], off
	s_waitcnt lgkmcnt(0)
	global_store_dwordx4 v[22:23], v[14:17], off
	ds_read_b128 v[2:5], v30 offset:7200
	ds_read_b128 v[6:9], v30 offset:8640
	;; [unrolled: 1-line block ×3, first 2 shown]
	v_lshlrev_b64 v[20:21], 4, v[28:29]
	v_add_nc_u32_e32 v28, 0x276, v24
	v_add_co_u32 v18, vcc_lo, v0, v18
	v_add_co_ci_u32_e32 v19, vcc_lo, v1, v19, vcc_lo
	v_lshlrev_b64 v[22:23], 4, v[28:29]
	v_add_co_u32 v20, vcc_lo, v0, v20
	v_add_co_ci_u32_e32 v21, vcc_lo, v1, v21, vcc_lo
	v_add_nc_u32_e32 v28, 0x2d0, v24
	v_add_co_u32 v22, vcc_lo, v0, v22
	v_add_co_ci_u32_e32 v23, vcc_lo, v1, v23, vcc_lo
	v_lshlrev_b64 v[25:26], 4, v[28:29]
	v_add_nc_u32_e32 v28, 0x32a, v24
	s_waitcnt lgkmcnt(2)
	global_store_dwordx4 v[18:19], v[2:5], off
	s_waitcnt lgkmcnt(1)
	global_store_dwordx4 v[20:21], v[6:9], off
	;; [unrolled: 2-line block ×3, first 2 shown]
	ds_read_b128 v[2:5], v30 offset:11520
	ds_read_b128 v[6:9], v30 offset:12960
	;; [unrolled: 1-line block ×3, first 2 shown]
	v_lshlrev_b64 v[18:19], 4, v[28:29]
	v_add_nc_u32_e32 v28, 0x384, v24
	v_add_co_u32 v20, vcc_lo, v0, v25
	v_add_co_ci_u32_e32 v21, vcc_lo, v1, v26, vcc_lo
	v_lshlrev_b64 v[22:23], 4, v[28:29]
	v_add_co_u32 v18, vcc_lo, v0, v18
	v_add_co_ci_u32_e32 v19, vcc_lo, v1, v19, vcc_lo
	v_add_nc_u32_e32 v28, 0x3de, v24
	v_add_co_u32 v22, vcc_lo, v0, v22
	v_add_co_ci_u32_e32 v23, vcc_lo, v1, v23, vcc_lo
	s_waitcnt lgkmcnt(2)
	global_store_dwordx4 v[20:21], v[2:5], off
	v_lshlrev_b64 v[20:21], 4, v[28:29]
	v_add_nc_u32_e32 v28, 0x438, v24
	s_waitcnt lgkmcnt(1)
	global_store_dwordx4 v[18:19], v[6:9], off
	s_waitcnt lgkmcnt(0)
	global_store_dwordx4 v[22:23], v[14:17], off
	ds_read_b128 v[2:5], v30 offset:15840
	ds_read_b128 v[6:9], v30 offset:17280
	;; [unrolled: 1-line block ×3, first 2 shown]
	v_lshlrev_b64 v[18:19], 4, v[28:29]
	v_add_nc_u32_e32 v28, 0x492, v24
	v_add_co_u32 v20, vcc_lo, v0, v20
	v_add_co_ci_u32_e32 v21, vcc_lo, v1, v21, vcc_lo
	v_lshlrev_b64 v[22:23], 4, v[28:29]
	v_add_co_u32 v18, vcc_lo, v0, v18
	v_add_co_ci_u32_e32 v19, vcc_lo, v1, v19, vcc_lo
	v_add_nc_u32_e32 v28, 0x4ec, v24
	v_add_co_u32 v22, vcc_lo, v0, v22
	v_add_co_ci_u32_e32 v23, vcc_lo, v1, v23, vcc_lo
	s_waitcnt lgkmcnt(2)
	global_store_dwordx4 v[20:21], v[2:5], off
	s_waitcnt lgkmcnt(1)
	global_store_dwordx4 v[18:19], v[6:9], off
	v_lshlrev_b64 v[25:26], 4, v[28:29]
	v_add_nc_u32_e32 v28, 0x546, v24
	ds_read_b128 v[2:5], v30 offset:20160
	s_waitcnt lgkmcnt(1)
	global_store_dwordx4 v[22:23], v[14:17], off
	ds_read_b128 v[6:9], v30 offset:21600
	ds_read_b128 v[14:17], v30 offset:23040
	v_lshlrev_b64 v[18:19], 4, v[28:29]
	v_add_nc_u32_e32 v28, 0x5a0, v24
	v_add_co_u32 v20, vcc_lo, v0, v25
	v_add_co_ci_u32_e32 v21, vcc_lo, v1, v26, vcc_lo
	v_lshlrev_b64 v[22:23], 4, v[28:29]
	v_add_co_u32 v18, vcc_lo, v0, v18
	v_add_co_ci_u32_e32 v19, vcc_lo, v1, v19, vcc_lo
	v_add_nc_u32_e32 v28, 0x5fa, v24
	v_add_co_u32 v22, vcc_lo, v0, v22
	v_add_co_ci_u32_e32 v23, vcc_lo, v1, v23, vcc_lo
	s_waitcnt lgkmcnt(2)
	global_store_dwordx4 v[20:21], v[2:5], off
	v_lshlrev_b64 v[20:21], 4, v[28:29]
	v_add_nc_u32_e32 v28, 0x654, v24
	s_waitcnt lgkmcnt(1)
	global_store_dwordx4 v[18:19], v[6:9], off
	s_waitcnt lgkmcnt(0)
	global_store_dwordx4 v[22:23], v[14:17], off
	ds_read_b128 v[2:5], v30 offset:24480
	ds_read_b128 v[6:9], v30 offset:25920
	;; [unrolled: 1-line block ×3, first 2 shown]
	v_lshlrev_b64 v[18:19], 4, v[28:29]
	v_add_nc_u32_e32 v28, 0x6ae, v24
	v_add_co_u32 v20, vcc_lo, v0, v20
	v_add_co_ci_u32_e32 v21, vcc_lo, v1, v21, vcc_lo
	v_lshlrev_b64 v[22:23], 4, v[28:29]
	v_add_co_u32 v18, vcc_lo, v0, v18
	v_add_co_ci_u32_e32 v19, vcc_lo, v1, v19, vcc_lo
	v_add_nc_u32_e32 v28, 0x708, v24
	v_add_co_u32 v22, vcc_lo, v0, v22
	v_add_co_ci_u32_e32 v23, vcc_lo, v1, v23, vcc_lo
	v_lshlrev_b64 v[25:26], 4, v[28:29]
	v_add_nc_u32_e32 v28, 0x762, v24
	s_waitcnt lgkmcnt(2)
	global_store_dwordx4 v[20:21], v[2:5], off
	s_waitcnt lgkmcnt(1)
	global_store_dwordx4 v[18:19], v[6:9], off
	;; [unrolled: 2-line block ×3, first 2 shown]
	ds_read_b128 v[2:5], v30 offset:28800
	ds_read_b128 v[6:9], v30 offset:30240
	;; [unrolled: 1-line block ×3, first 2 shown]
	v_lshlrev_b64 v[18:19], 4, v[28:29]
	v_add_nc_u32_e32 v28, 0x7bc, v24
	v_add_co_u32 v20, vcc_lo, v0, v25
	v_add_co_ci_u32_e32 v21, vcc_lo, v1, v26, vcc_lo
	v_lshlrev_b64 v[22:23], 4, v[28:29]
	v_add_co_u32 v18, vcc_lo, v0, v18
	v_add_co_ci_u32_e32 v19, vcc_lo, v1, v19, vcc_lo
	v_add_nc_u32_e32 v28, 0x816, v24
	v_add_co_u32 v22, vcc_lo, v0, v22
	v_add_co_ci_u32_e32 v23, vcc_lo, v1, v23, vcc_lo
	s_waitcnt lgkmcnt(2)
	global_store_dwordx4 v[20:21], v[2:5], off
	s_waitcnt lgkmcnt(1)
	global_store_dwordx4 v[18:19], v[6:9], off
	;; [unrolled: 2-line block ×3, first 2 shown]
	v_lshlrev_b64 v[20:21], 4, v[28:29]
	v_add_nc_u32_e32 v28, 0x870, v24
	ds_read_b128 v[2:5], v30 offset:33120
	ds_read_b128 v[6:9], v30 offset:34560
	;; [unrolled: 1-line block ×3, first 2 shown]
	v_lshlrev_b64 v[18:19], 4, v[28:29]
	v_add_nc_u32_e32 v28, 0x8ca, v24
	v_add_co_u32 v20, vcc_lo, v0, v20
	v_add_co_ci_u32_e32 v21, vcc_lo, v1, v21, vcc_lo
	v_lshlrev_b64 v[22:23], 4, v[28:29]
	v_add_nc_u32_e32 v28, 0x924, v24
	v_add_co_u32 v18, vcc_lo, v0, v18
	v_add_co_ci_u32_e32 v19, vcc_lo, v1, v19, vcc_lo
	;; [unrolled: 4-line block ×3, first 2 shown]
	s_waitcnt lgkmcnt(2)
	global_store_dwordx4 v[20:21], v[2:5], off
	s_waitcnt lgkmcnt(1)
	global_store_dwordx4 v[18:19], v[6:9], off
	v_lshlrev_b64 v[18:19], 4, v[28:29]
	v_add_nc_u32_e32 v28, 0x9d8, v24
	s_waitcnt lgkmcnt(0)
	global_store_dwordx4 v[22:23], v[14:17], off
	ds_read_b128 v[2:5], v30 offset:37440
	ds_read_b128 v[6:9], v30 offset:38880
	;; [unrolled: 1-line block ×3, first 2 shown]
	v_add_co_u32 v20, vcc_lo, v0, v25
	v_lshlrev_b64 v[22:23], 4, v[28:29]
	v_add_nc_u32_e32 v28, 0xa32, v24
	v_add_co_ci_u32_e32 v21, vcc_lo, v1, v26, vcc_lo
	v_add_co_u32 v18, vcc_lo, v0, v18
	v_lshlrev_b64 v[25:26], 4, v[28:29]
	v_add_co_ci_u32_e32 v19, vcc_lo, v1, v19, vcc_lo
	v_add_co_u32 v22, vcc_lo, v0, v22
	v_add_co_ci_u32_e32 v23, vcc_lo, v1, v23, vcc_lo
	v_add_co_u32 v25, vcc_lo, v0, v25
	v_add_co_ci_u32_e32 v26, vcc_lo, v1, v26, vcc_lo
	v_cmp_eq_u32_e32 vcc_lo, 0x59, v24
	s_waitcnt lgkmcnt(2)
	global_store_dwordx4 v[20:21], v[2:5], off
	s_waitcnt lgkmcnt(1)
	global_store_dwordx4 v[18:19], v[6:9], off
	;; [unrolled: 2-line block ×3, first 2 shown]
	global_store_dwordx4 v[25:26], v[10:13], off
	s_and_b32 exec_lo, exec_lo, vcc_lo
	s_cbranch_execz .LBB0_20
; %bb.19:
	v_mov_b32_e32 v2, 0
	v_add_co_u32 v0, vcc_lo, 0xa800, v0
	v_add_co_ci_u32_e32 v1, vcc_lo, 0, v1, vcc_lo
	ds_read_b128 v[2:5], v2 offset:43200
	s_waitcnt lgkmcnt(0)
	global_store_dwordx4 v[0:1], v[2:5], off offset:192
.LBB0_20:
	s_endpgm
	.section	.rodata,"a",@progbits
	.p2align	6, 0x0
	.amdhsa_kernel fft_rtc_fwd_len2700_factors_3_10_10_3_3_wgs_90_tpt_90_halfLds_dp_op_CI_CI_unitstride_sbrr_R2C_dirReg
		.amdhsa_group_segment_fixed_size 0
		.amdhsa_private_segment_fixed_size 0
		.amdhsa_kernarg_size 104
		.amdhsa_user_sgpr_count 6
		.amdhsa_user_sgpr_private_segment_buffer 1
		.amdhsa_user_sgpr_dispatch_ptr 0
		.amdhsa_user_sgpr_queue_ptr 0
		.amdhsa_user_sgpr_kernarg_segment_ptr 1
		.amdhsa_user_sgpr_dispatch_id 0
		.amdhsa_user_sgpr_flat_scratch_init 0
		.amdhsa_user_sgpr_private_segment_size 0
		.amdhsa_wavefront_size32 1
		.amdhsa_uses_dynamic_stack 0
		.amdhsa_system_sgpr_private_segment_wavefront_offset 0
		.amdhsa_system_sgpr_workgroup_id_x 1
		.amdhsa_system_sgpr_workgroup_id_y 0
		.amdhsa_system_sgpr_workgroup_id_z 0
		.amdhsa_system_sgpr_workgroup_info 0
		.amdhsa_system_vgpr_workitem_id 0
		.amdhsa_next_free_vgpr 206
		.amdhsa_next_free_sgpr 27
		.amdhsa_reserve_vcc 1
		.amdhsa_reserve_flat_scratch 0
		.amdhsa_float_round_mode_32 0
		.amdhsa_float_round_mode_16_64 0
		.amdhsa_float_denorm_mode_32 3
		.amdhsa_float_denorm_mode_16_64 3
		.amdhsa_dx10_clamp 1
		.amdhsa_ieee_mode 1
		.amdhsa_fp16_overflow 0
		.amdhsa_workgroup_processor_mode 1
		.amdhsa_memory_ordered 1
		.amdhsa_forward_progress 0
		.amdhsa_shared_vgpr_count 0
		.amdhsa_exception_fp_ieee_invalid_op 0
		.amdhsa_exception_fp_denorm_src 0
		.amdhsa_exception_fp_ieee_div_zero 0
		.amdhsa_exception_fp_ieee_overflow 0
		.amdhsa_exception_fp_ieee_underflow 0
		.amdhsa_exception_fp_ieee_inexact 0
		.amdhsa_exception_int_div_zero 0
	.end_amdhsa_kernel
	.text
.Lfunc_end0:
	.size	fft_rtc_fwd_len2700_factors_3_10_10_3_3_wgs_90_tpt_90_halfLds_dp_op_CI_CI_unitstride_sbrr_R2C_dirReg, .Lfunc_end0-fft_rtc_fwd_len2700_factors_3_10_10_3_3_wgs_90_tpt_90_halfLds_dp_op_CI_CI_unitstride_sbrr_R2C_dirReg
                                        ; -- End function
	.section	.AMDGPU.csdata,"",@progbits
; Kernel info:
; codeLenInByte = 27004
; NumSgprs: 29
; NumVgprs: 206
; ScratchSize: 0
; MemoryBound: 0
; FloatMode: 240
; IeeeMode: 1
; LDSByteSize: 0 bytes/workgroup (compile time only)
; SGPRBlocks: 3
; VGPRBlocks: 25
; NumSGPRsForWavesPerEU: 29
; NumVGPRsForWavesPerEU: 206
; Occupancy: 4
; WaveLimiterHint : 1
; COMPUTE_PGM_RSRC2:SCRATCH_EN: 0
; COMPUTE_PGM_RSRC2:USER_SGPR: 6
; COMPUTE_PGM_RSRC2:TRAP_HANDLER: 0
; COMPUTE_PGM_RSRC2:TGID_X_EN: 1
; COMPUTE_PGM_RSRC2:TGID_Y_EN: 0
; COMPUTE_PGM_RSRC2:TGID_Z_EN: 0
; COMPUTE_PGM_RSRC2:TIDIG_COMP_CNT: 0
	.text
	.p2alignl 6, 3214868480
	.fill 48, 4, 3214868480
	.type	__hip_cuid_c0baad55196fa10c,@object ; @__hip_cuid_c0baad55196fa10c
	.section	.bss,"aw",@nobits
	.globl	__hip_cuid_c0baad55196fa10c
__hip_cuid_c0baad55196fa10c:
	.byte	0                               ; 0x0
	.size	__hip_cuid_c0baad55196fa10c, 1

	.ident	"AMD clang version 19.0.0git (https://github.com/RadeonOpenCompute/llvm-project roc-6.4.0 25133 c7fe45cf4b819c5991fe208aaa96edf142730f1d)"
	.section	".note.GNU-stack","",@progbits
	.addrsig
	.addrsig_sym __hip_cuid_c0baad55196fa10c
	.amdgpu_metadata
---
amdhsa.kernels:
  - .args:
      - .actual_access:  read_only
        .address_space:  global
        .offset:         0
        .size:           8
        .value_kind:     global_buffer
      - .offset:         8
        .size:           8
        .value_kind:     by_value
      - .actual_access:  read_only
        .address_space:  global
        .offset:         16
        .size:           8
        .value_kind:     global_buffer
      - .actual_access:  read_only
        .address_space:  global
        .offset:         24
        .size:           8
        .value_kind:     global_buffer
      - .actual_access:  read_only
        .address_space:  global
        .offset:         32
        .size:           8
        .value_kind:     global_buffer
      - .offset:         40
        .size:           8
        .value_kind:     by_value
      - .actual_access:  read_only
        .address_space:  global
        .offset:         48
        .size:           8
        .value_kind:     global_buffer
      - .actual_access:  read_only
        .address_space:  global
        .offset:         56
        .size:           8
        .value_kind:     global_buffer
      - .offset:         64
        .size:           4
        .value_kind:     by_value
      - .actual_access:  read_only
        .address_space:  global
        .offset:         72
        .size:           8
        .value_kind:     global_buffer
      - .actual_access:  read_only
        .address_space:  global
        .offset:         80
        .size:           8
        .value_kind:     global_buffer
      - .actual_access:  read_only
        .address_space:  global
        .offset:         88
        .size:           8
        .value_kind:     global_buffer
      - .actual_access:  write_only
        .address_space:  global
        .offset:         96
        .size:           8
        .value_kind:     global_buffer
    .group_segment_fixed_size: 0
    .kernarg_segment_align: 8
    .kernarg_segment_size: 104
    .language:       OpenCL C
    .language_version:
      - 2
      - 0
    .max_flat_workgroup_size: 90
    .name:           fft_rtc_fwd_len2700_factors_3_10_10_3_3_wgs_90_tpt_90_halfLds_dp_op_CI_CI_unitstride_sbrr_R2C_dirReg
    .private_segment_fixed_size: 0
    .sgpr_count:     29
    .sgpr_spill_count: 0
    .symbol:         fft_rtc_fwd_len2700_factors_3_10_10_3_3_wgs_90_tpt_90_halfLds_dp_op_CI_CI_unitstride_sbrr_R2C_dirReg.kd
    .uniform_work_group_size: 1
    .uses_dynamic_stack: false
    .vgpr_count:     206
    .vgpr_spill_count: 0
    .wavefront_size: 32
    .workgroup_processor_mode: 1
amdhsa.target:   amdgcn-amd-amdhsa--gfx1030
amdhsa.version:
  - 1
  - 2
...

	.end_amdgpu_metadata
